;; amdgpu-corpus repo=ROCm/rocFFT kind=compiled arch=gfx906 opt=O3
	.text
	.amdgcn_target "amdgcn-amd-amdhsa--gfx906"
	.amdhsa_code_object_version 6
	.protected	bluestein_single_back_len2160_dim1_sp_op_CI_CI ; -- Begin function bluestein_single_back_len2160_dim1_sp_op_CI_CI
	.globl	bluestein_single_back_len2160_dim1_sp_op_CI_CI
	.p2align	8
	.type	bluestein_single_back_len2160_dim1_sp_op_CI_CI,@function
bluestein_single_back_len2160_dim1_sp_op_CI_CI: ; @bluestein_single_back_len2160_dim1_sp_op_CI_CI
; %bb.0:
	s_load_dwordx4 s[8:11], s[4:5], 0x28
	s_mov_b64 s[22:23], s[2:3]
	v_mul_u32_u24_e32 v1, 0x445, v0
	s_mov_b64 s[20:21], s[0:1]
	v_add_u32_sdwa v4, s6, v1 dst_sel:DWORD dst_unused:UNUSED_PAD src0_sel:DWORD src1_sel:WORD_1
	v_mov_b32_e32 v5, 0
	s_add_u32 s20, s20, s7
	s_waitcnt lgkmcnt(0)
	v_cmp_gt_u64_e32 vcc, s[8:9], v[4:5]
	s_addc_u32 s21, s21, 0
	s_and_saveexec_b64 s[0:1], vcc
	s_cbranch_execz .LBB0_15
; %bb.1:
	s_load_dwordx4 s[12:15], s[4:5], 0x18
	v_mov_b32_e32 v2, 60
	v_mul_lo_u16_sdwa v1, v1, v2 dst_sel:DWORD dst_unused:UNUSED_PAD src0_sel:WORD_1 src1_sel:DWORD
	v_sub_u16_e32 v239, v0, v1
	v_mov_b32_e32 v5, v4
	s_waitcnt lgkmcnt(0)
	s_load_dwordx4 s[0:3], s[12:13], 0x0
	buffer_store_dword v5, off, s[20:23], 0 offset:252 ; 4-byte Folded Spill
	s_nop 0
	buffer_store_dword v6, off, s[20:23], 0 offset:256 ; 4-byte Folded Spill
	v_mov_b32_e32 v7, s11
	v_lshlrev_b32_e32 v236, 3, v239
	v_or_b32_e32 v30, 0x6c0, v239
	s_waitcnt lgkmcnt(0)
	v_mad_u64_u32 v[0:1], s[6:7], s2, v4, 0
	v_mad_u64_u32 v[2:3], s[6:7], s0, v239, 0
	s_load_dwordx2 s[6:7], s[4:5], 0x0
	v_mov_b32_e32 v42, 0xd80
	v_mad_u64_u32 v[4:5], s[2:3], s3, v4, v[1:2]
	s_mul_i32 s18, s1, 0xd80
	s_waitcnt lgkmcnt(0)
	global_load_dwordx2 v[72:73], v236, s[6:7]
	global_load_dwordx2 v[62:63], v236, s[6:7] offset:1728
	global_load_dwordx2 v[60:61], v236, s[6:7] offset:3456
	v_mad_u64_u32 v[5:6], s[2:3], s1, v239, v[3:4]
	v_mov_b32_e32 v1, v4
	v_lshlrev_b64 v[0:1], 3, v[0:1]
	v_mov_b32_e32 v3, v5
	v_add_co_u32_e32 v6, vcc, s10, v0
	v_addc_co_u32_e32 v8, vcc, v7, v1, vcc
	v_lshlrev_b64 v[0:1], 3, v[2:3]
	s_mul_i32 s2, s1, 0xd8
	v_add_co_u32_e32 v0, vcc, v6, v0
	v_addc_co_u32_e32 v1, vcc, v8, v1, vcc
	s_mul_hi_u32 s3, s0, 0xd8
	v_mov_b32_e32 v2, s7
	v_add_co_u32_e32 v237, vcc, s6, v236
	s_add_i32 s3, s3, s2
	s_mul_i32 s2, s0, 0xd8
	v_addc_co_u32_e32 v238, vcc, 0, v2, vcc
	s_lshl_b64 s[12:13], s[2:3], 3
	v_mov_b32_e32 v7, s13
	v_add_co_u32_e32 v2, vcc, s12, v0
	v_addc_co_u32_e32 v3, vcc, v1, v7, vcc
	v_add_co_u32_e32 v4, vcc, s12, v2
	v_addc_co_u32_e32 v5, vcc, v3, v7, vcc
	;; [unrolled: 2-line block ×3, first 2 shown]
	s_movk_i32 s2, 0x1000
	global_load_dwordx2 v[11:12], v[0:1], off
	global_load_dwordx2 v[13:14], v[2:3], off
	global_load_dwordx2 v[15:16], v[4:5], off
	global_load_dwordx2 v[17:18], v[9:10], off
	v_add_co_u32_e32 v2, vcc, s2, v237
	v_addc_co_u32_e32 v3, vcc, 0, v238, vcc
	v_add_co_u32_e32 v0, vcc, s12, v9
	v_addc_co_u32_e32 v1, vcc, v10, v7, vcc
	;; [unrolled: 2-line block ×3, first 2 shown]
	s_movk_i32 s2, 0x2000
	global_load_dwordx2 v[70:71], v[2:3], off offset:1088
	global_load_dwordx2 v[9:10], v[0:1], off
	global_load_dwordx2 v[54:55], v[2:3], off offset:2816
	v_add_co_u32_e32 v0, vcc, s2, v237
	v_addc_co_u32_e32 v1, vcc, 0, v238, vcc
	global_load_dwordx2 v[19:20], v[4:5], off
	v_add_co_u32_e32 v4, vcc, s12, v4
	v_addc_co_u32_e32 v5, vcc, v5, v7, vcc
	global_load_dwordx2 v[56:57], v[0:1], off offset:448
	global_load_dwordx2 v[23:24], v[4:5], off
	global_load_dwordx2 v[66:67], v[0:1], off offset:2176
	v_mad_u64_u32 v[21:22], s[2:3], s0, v30, 0
	v_add_co_u32_e32 v4, vcc, s12, v4
	v_addc_co_u32_e32 v5, vcc, v5, v7, vcc
	v_mad_u64_u32 v[28:29], s[2:3], s0, v42, v[4:5]
	v_add_u32_e32 v29, s18, v29
	s_waitcnt vmcnt(10)
	v_mul_f32_e32 v40, v12, v73
	v_fmac_f32_e32 v40, v11, v72
	v_mul_f32_e32 v11, v11, v73
	s_waitcnt vmcnt(1)
	v_mad_u64_u32 v[25:26], s[2:3], s1, v30, v[22:23]
	global_load_dwordx2 v[26:27], v[4:5], off
	global_load_dwordx2 v[58:59], v[0:1], off offset:3904
	v_lshlrev_b32_e32 v4, 3, v30
	v_mov_b32_e32 v22, v25
	v_lshlrev_b64 v[21:22], 3, v[21:22]
	s_movk_i32 s2, 0x3000
	v_add_co_u32_e32 v21, vcc, v6, v21
	v_addc_co_u32_e32 v22, vcc, v8, v22, vcc
	s_mul_hi_u32 s3, s0, 0xfffff8a4
	buffer_store_dword v4, off, s[20:23], 0 offset:372 ; 4-byte Folded Spill
	global_load_dwordx2 v[52:53], v4, s[6:7]
	v_add_co_u32_e32 v4, vcc, s2, v237
	s_mul_i32 s2, s1, 0xfffff8a4
	s_sub_i32 s3, s3, s0
	s_add_i32 s3, s3, s2
	s_mul_i32 s2, s0, 0xfffff8a4
	v_addc_co_u32_e32 v5, vcc, 0, v238, vcc
	s_lshl_b64 s[16:17], s[2:3], 3
	buffer_store_dword v30, off, s[20:23], 0 offset:96 ; 4-byte Folded Spill
	global_load_dwordx2 v[30:31], v[28:29], off
	v_mov_b32_e32 v43, s17
	v_add_co_u32_e32 v28, vcc, s16, v28
	v_addc_co_u32_e32 v29, vcc, v29, v43, vcc
	global_load_dwordx2 v[21:22], v[21:22], off
	s_nop 0
	global_load_dwordx2 v[48:49], v[4:5], off offset:3264
	global_load_dwordx2 v[32:33], v[28:29], off
	global_load_dwordx2 v[50:51], v236, s[6:7] offset:480
	v_add_co_u32_e32 v28, vcc, s12, v28
	v_addc_co_u32_e32 v29, vcc, v29, v7, vcc
	global_load_dwordx2 v[34:35], v[28:29], off
	global_load_dwordx2 v[46:47], v236, s[6:7] offset:2208
	v_add_co_u32_e32 v28, vcc, s12, v28
	v_addc_co_u32_e32 v29, vcc, v29, v7, vcc
	;; [unrolled: 4-line block ×3, first 2 shown]
	global_load_dwordx2 v[38:39], v[28:29], off
	global_load_dwordx2 v[68:69], v[2:3], off offset:1568
	s_load_dwordx2 s[2:3], s[4:5], 0x38
	s_load_dwordx4 s[8:11], s[14:15], 0x0
	global_load_dwordx2 v[64:65], v236, s[6:7] offset:960
	s_nop 0
	buffer_store_dword v72, off, s[20:23], 0 offset:236 ; 4-byte Folded Spill
	s_nop 0
	buffer_store_dword v73, off, s[20:23], 0 offset:240 ; 4-byte Folded Spill
	v_fma_f32 v41, v12, v72, -v11
	v_mul_f32_e32 v11, v14, v63
	v_fmac_f32_e32 v11, v13, v62
	v_mul_f32_e32 v12, v13, v63
	buffer_store_dword v62, off, s[20:23], 0 offset:228 ; 4-byte Folded Spill
	s_nop 0
	buffer_store_dword v63, off, s[20:23], 0 offset:232 ; 4-byte Folded Spill
	s_waitcnt vmcnt(5)
	v_mul_f32_e32 v13, v39, v69
	v_fmac_f32_e32 v13, v38, v68
	v_fma_f32 v12, v14, v62, -v12
	ds_write_b64 v236, v[11:12] offset:1728
	v_mul_f32_e32 v11, v16, v61
	global_load_dwordx2 v[62:63], v236, s[6:7] offset:2688
	v_fmac_f32_e32 v11, v15, v60
	v_mul_f32_e32 v12, v15, v61
	buffer_store_dword v60, off, s[20:23], 0 offset:204 ; 4-byte Folded Spill
	s_nop 0
	buffer_store_dword v61, off, s[20:23], 0 offset:208 ; 4-byte Folded Spill
	v_add_co_u32_e32 v14, vcc, s12, v28
	v_addc_co_u32_e32 v15, vcc, v29, v7, vcc
	v_fma_f32 v12, v16, v60, -v12
	ds_write_b64 v236, v[11:12] offset:3456
	v_mul_f32_e32 v11, v18, v71
	global_load_dwordx2 v[60:61], v[2:3], off offset:320
	v_fmac_f32_e32 v11, v17, v70
	v_mul_f32_e32 v12, v17, v71
	buffer_store_dword v70, off, s[20:23], 0 offset:196 ; 4-byte Folded Spill
	s_nop 0
	buffer_store_dword v71, off, s[20:23], 0 offset:200 ; 4-byte Folded Spill
	v_fma_f32 v12, v18, v70, -v12
	ds_write_b64 v236, v[11:12] offset:5184
	v_mul_f32_e32 v11, v10, v55
	v_fmac_f32_e32 v11, v9, v54
	v_mul_f32_e32 v9, v9, v55
	buffer_store_dword v54, off, s[20:23], 0 offset:164 ; 4-byte Folded Spill
	s_nop 0
	buffer_store_dword v55, off, s[20:23], 0 offset:168 ; 4-byte Folded Spill
	v_fma_f32 v12, v10, v54, -v9
	ds_write_b64 v236, v[11:12] offset:6912
	v_mul_f32_e32 v9, v20, v57
	global_load_dwordx2 v[74:75], v[0:1], off offset:928
	global_load_dwordx2 v[54:55], v[0:1], off offset:1408
	v_fmac_f32_e32 v9, v19, v56
	v_mul_f32_e32 v10, v19, v57
	buffer_store_dword v56, off, s[20:23], 0 offset:148 ; 4-byte Folded Spill
	s_nop 0
	buffer_store_dword v57, off, s[20:23], 0 offset:152 ; 4-byte Folded Spill
	v_mul_f32_e32 v11, v37, v45
	v_fmac_f32_e32 v11, v36, v44
	v_mul_f32_e32 v12, v36, v45
	v_fma_f32 v10, v20, v56, -v10
	ds_write_b64 v236, v[9:10] offset:8640
	v_mul_f32_e32 v9, v24, v67
	v_fmac_f32_e32 v9, v23, v66
	v_mul_f32_e32 v10, v23, v67
	buffer_store_dword v66, off, s[20:23], 0 offset:180 ; 4-byte Folded Spill
	s_nop 0
	buffer_store_dword v67, off, s[20:23], 0 offset:184 ; 4-byte Folded Spill
	v_fma_f32 v10, v24, v66, -v10
	ds_write_b64 v236, v[9:10] offset:10368
	v_mul_f32_e32 v9, v27, v59
	global_load_dwordx2 v[82:83], v[0:1], off offset:2656
	global_load_dwordx2 v[56:57], v[0:1], off offset:3136
	v_fmac_f32_e32 v9, v26, v58
	v_mul_f32_e32 v10, v26, v59
	buffer_store_dword v58, off, s[20:23], 0 offset:140 ; 4-byte Folded Spill
	s_nop 0
	buffer_store_dword v59, off, s[20:23], 0 offset:144 ; 4-byte Folded Spill
	v_fma_f32 v10, v27, v58, -v10
	ds_write_b64 v236, v[9:10] offset:12096
	v_mul_f32_e32 v9, v22, v53
	global_load_dwordx2 v[80:81], v[4:5], off offset:288
	global_load_dwordx2 v[78:79], v[4:5], off offset:2016
	;; [unrolled: 1-line block ×3, first 2 shown]
	v_fmac_f32_e32 v9, v21, v52
	v_mul_f32_e32 v10, v21, v53
	buffer_store_dword v52, off, s[20:23], 0 offset:124 ; 4-byte Folded Spill
	s_nop 0
	buffer_store_dword v53, off, s[20:23], 0 offset:128 ; 4-byte Folded Spill
	v_fma_f32 v10, v22, v52, -v10
	ds_write_b64 v236, v[9:10] offset:13824
	v_mul_f32_e32 v9, v31, v49
	global_load_dwordx2 v[76:77], v[4:5], off offset:3744
	global_load_dwordx2 v[52:53], v[4:5], off offset:2496
	v_fmac_f32_e32 v9, v30, v48
	v_mul_f32_e32 v10, v30, v49
	buffer_store_dword v48, off, s[20:23], 0 offset:100 ; 4-byte Folded Spill
	s_nop 0
	buffer_store_dword v49, off, s[20:23], 0 offset:104 ; 4-byte Folded Spill
	v_fma_f32 v10, v31, v48, -v10
	ds_write_b64 v236, v[9:10] offset:15552
	v_mul_f32_e32 v9, v33, v51
	v_fmac_f32_e32 v9, v32, v50
	v_mul_f32_e32 v10, v32, v51
	buffer_store_dword v50, off, s[20:23], 0 offset:108 ; 4-byte Folded Spill
	s_nop 0
	buffer_store_dword v51, off, s[20:23], 0 offset:112 ; 4-byte Folded Spill
	v_fma_f32 v10, v33, v50, -v10
	ds_write2_b64 v236, v[40:41], v[9:10] offset1:60
	v_mul_f32_e32 v9, v35, v47
	v_fmac_f32_e32 v9, v34, v46
	v_mul_f32_e32 v10, v34, v47
	buffer_store_dword v46, off, s[20:23], 0 offset:84 ; 4-byte Folded Spill
	s_nop 0
	buffer_store_dword v47, off, s[20:23], 0 offset:88 ; 4-byte Folded Spill
	buffer_store_dword v44, off, s[20:23], 0 offset:76 ; 4-byte Folded Spill
	s_nop 0
	buffer_store_dword v45, off, s[20:23], 0 offset:80 ; 4-byte Folded Spill
	global_load_dwordx2 v[16:17], v[14:15], off
	global_load_dwordx2 v[84:85], v[2:3], off offset:3296
	v_add_co_u32_e32 v14, vcc, s12, v14
	v_addc_co_u32_e32 v15, vcc, v15, v7, vcc
	global_load_dwordx2 v[18:19], v[14:15], off
	v_add_co_u32_e32 v14, vcc, s12, v14
	v_addc_co_u32_e32 v15, vcc, v15, v7, vcc
	global_load_dwordx2 v[20:21], v[14:15], off
	;; [unrolled: 3-line block ×7, first 2 shown]
	v_add_co_u32_e32 v14, vcc, s12, v14
	v_addc_co_u32_e32 v15, vcc, v15, v7, vcc
	v_fma_f32 v10, v35, v46, -v10
	v_fma_f32 v12, v37, v44, -v12
	v_or_b32_e32 v37, 0x300, v239
	v_mad_u64_u32 v[30:31], s[14:15], s0, v37, 0
	buffer_store_dword v37, off, s[20:23], 0 offset:92 ; 4-byte Folded Spill
	s_waitcnt vmcnt(1)
	v_mad_u64_u32 v[34:35], s[14:15], s1, v37, v[31:32]
	global_load_dwordx2 v[35:36], v[14:15], off
	v_mad_u64_u32 v[14:15], s[0:1], s0, v42, v[14:15]
	v_mov_b32_e32 v31, v34
	v_lshlrev_b64 v[30:31], 3, v[30:31]
	v_add_u32_e32 v15, s18, v15
	v_add_co_u32_e32 v30, vcc, v6, v30
	v_lshlrev_b32_e32 v6, 3, v37
	v_addc_co_u32_e32 v31, vcc, v8, v31, vcc
	buffer_store_dword v6, off, s[20:23], 0 offset:352 ; 4-byte Folded Spill
	global_load_dwordx2 v[30:31], v[30:31], off
	s_movk_i32 s0, 0x4000
	global_load_dwordx2 v[72:73], v6, s[6:7]
	global_load_dwordx2 v[40:41], v[14:15], off
	global_load_dwordx2 v[70:71], v[2:3], off offset:3776
	v_add_co_u32_e32 v14, vcc, s12, v14
	v_addc_co_u32_e32 v15, vcc, v15, v7, vcc
	global_load_dwordx2 v[42:43], v[14:15], off
	v_add_co_u32_e32 v14, vcc, s12, v14
	v_addc_co_u32_e32 v15, vcc, v15, v7, vcc
	global_load_dwordx2 v[44:45], v[14:15], off
	;; [unrolled: 3-line block ×3, first 2 shown]
	v_add_co_u32_e32 v14, vcc, s12, v14
	v_addc_co_u32_e32 v15, vcc, v15, v7, vcc
	v_add_co_u32_e32 v6, vcc, s12, v14
	v_addc_co_u32_e32 v7, vcc, v15, v7, vcc
	global_load_dwordx2 v[48:49], v[14:15], off
	v_add_co_u32_e32 v14, vcc, s0, v237
	v_addc_co_u32_e32 v15, vcc, 0, v238, vcc
	global_load_dwordx2 v[50:51], v[6:7], off
	global_load_dwordx2 v[66:67], v[14:15], off offset:128
	v_mul_f32_e32 v8, v38, v69
	buffer_store_dword v68, off, s[20:23], 0 offset:68 ; 4-byte Folded Spill
	s_nop 0
	buffer_store_dword v69, off, s[20:23], 0 offset:72 ; 4-byte Folded Spill
	v_mul_f32_e32 v15, v17, v85
	v_fmac_f32_e32 v15, v16, v84
	v_cmp_gt_u16_e64 s[0:1], 36, v239
	v_fma_f32 v14, v39, v68, -v8
	v_mul_f32_e32 v8, v16, v85
	buffer_store_dword v84, off, s[20:23], 0 offset:244 ; 4-byte Folded Spill
	s_nop 0
	buffer_store_dword v85, off, s[20:23], 0 offset:248 ; 4-byte Folded Spill
	v_fma_f32 v16, v17, v84, -v8
	v_mul_f32_e32 v17, v19, v75
	v_fmac_f32_e32 v17, v18, v74
	v_mul_f32_e32 v8, v18, v75
	buffer_store_dword v74, off, s[20:23], 0 offset:156 ; 4-byte Folded Spill
	s_nop 0
	buffer_store_dword v75, off, s[20:23], 0 offset:160 ; 4-byte Folded Spill
	v_fma_f32 v18, v19, v74, -v8
	v_mul_f32_e32 v19, v21, v83
	v_fmac_f32_e32 v19, v20, v82
	;; [unrolled: 7-line block ×6, first 2 shown]
	v_mul_f32_e32 v8, v28, v65
	buffer_store_dword v64, off, s[20:23], 0 offset:52 ; 4-byte Folded Spill
	s_nop 0
	buffer_store_dword v65, off, s[20:23], 0 offset:56 ; 4-byte Folded Spill
	v_fma_f32 v28, v29, v64, -v8
	ds_write_b64 v236, v[27:28] offset:960
	v_mul_f32_e32 v27, v33, v63
	v_fmac_f32_e32 v27, v32, v62
	v_mul_f32_e32 v8, v32, v63
	buffer_store_dword v62, off, s[20:23], 0 offset:44 ; 4-byte Folded Spill
	s_nop 0
	buffer_store_dword v63, off, s[20:23], 0 offset:48 ; 4-byte Folded Spill
	v_fma_f32 v28, v33, v62, -v8
	v_add_u32_e32 v8, 0x800, v236
	ds_write2_b64 v8, v[9:10], v[27:28] offset0:20 offset1:80
	s_waitcnt vmcnt(29)
	v_mul_f32_e32 v9, v36, v61
	v_fmac_f32_e32 v9, v35, v60
	v_mul_f32_e32 v10, v35, v61
	buffer_store_dword v60, off, s[20:23], 0 offset:36 ; 4-byte Folded Spill
	s_nop 0
	buffer_store_dword v61, off, s[20:23], 0 offset:40 ; 4-byte Folded Spill
	v_add_u32_e32 v27, 0xc00, v236
	v_fma_f32 v10, v36, v60, -v10
	ds_write2_b64 v27, v[11:12], v[9:10] offset0:108 offset1:168
	s_waitcnt vmcnt(28)
	v_mul_f32_e32 v10, v31, v73
	v_fmac_f32_e32 v10, v30, v72
	v_mul_f32_e32 v9, v30, v73
	buffer_store_dword v72, off, s[20:23], 0 offset:132 ; 4-byte Folded Spill
	s_nop 0
	buffer_store_dword v73, off, s[20:23], 0 offset:136 ; 4-byte Folded Spill
	v_add_u32_e32 v12, 0x1800, v236
	v_fma_f32 v11, v31, v72, -v9
	v_add_u32_e32 v9, 0x1400, v236
	ds_write2_b64 v9, v[13:14], v[10:11] offset0:68 offset1:128
	s_waitcnt vmcnt(28)
	v_mul_f32_e32 v10, v41, v71
	v_fmac_f32_e32 v10, v40, v70
	v_mul_f32_e32 v11, v40, v71
	buffer_store_dword v70, off, s[20:23], 0 offset:116 ; 4-byte Folded Spill
	s_nop 0
	buffer_store_dword v71, off, s[20:23], 0 offset:120 ; 4-byte Folded Spill
	s_waitcnt vmcnt(29)
	v_mul_f32_e32 v13, v43, v55
	v_fmac_f32_e32 v13, v42, v54
	v_fma_f32 v11, v41, v70, -v11
	ds_write2_b64 v12, v[15:16], v[10:11] offset0:156 offset1:216
	v_mul_f32_e32 v10, v42, v55
	buffer_store_dword v54, off, s[20:23], 0 offset:12 ; 4-byte Folded Spill
	s_nop 0
	buffer_store_dword v55, off, s[20:23], 0 offset:16 ; 4-byte Folded Spill
	s_waitcnt vmcnt(30)
	v_mul_f32_e32 v15, v45, v57
	v_fmac_f32_e32 v15, v44, v56
	v_mul_f32_e32 v11, v44, v57
	v_fma_f32 v14, v43, v54, -v10
	v_add_u32_e32 v10, 0x2000, v236
	ds_write2_b64 v10, v[17:18], v[13:14] offset0:116 offset1:176
	buffer_store_dword v56, off, s[20:23], 0 offset:20 ; 4-byte Folded Spill
	s_nop 0
	buffer_store_dword v57, off, s[20:23], 0 offset:24 ; 4-byte Folded Spill
	v_add_u32_e32 v14, 0x2800, v236
	s_waitcnt vmcnt(30)
	v_mul_f32_e32 v13, v48, v53
	v_fma_f32 v16, v45, v56, -v11
	ds_write2_b64 v14, v[19:20], v[15:16] offset0:76 offset1:136
	v_mul_f32_e32 v15, v47, v59
	v_fmac_f32_e32 v15, v46, v58
	v_mul_f32_e32 v11, v46, v59
	buffer_store_dword v58, off, s[20:23], 0 offset:28 ; 4-byte Folded Spill
	s_nop 0
	buffer_store_dword v59, off, s[20:23], 0 offset:32 ; 4-byte Folded Spill
	v_fma_f32 v16, v47, v58, -v11
	v_add_u32_e32 v11, 0x3000, v236
	ds_write2_b64 v11, v[21:22], v[15:16] offset0:36 offset1:96
	v_mul_f32_e32 v15, v49, v53
	v_fmac_f32_e32 v15, v48, v52
	buffer_store_dword v52, off, s[20:23], 0 offset:4 ; 4-byte Folded Spill
	s_nop 0
	buffer_store_dword v53, off, s[20:23], 0 offset:8 ; 4-byte Folded Spill
	v_fma_f32 v16, v49, v52, -v13
	v_add_u32_e32 v13, 0x3400, v236
	ds_write2_b64 v13, v[23:24], v[15:16] offset0:124 offset1:184
	s_waitcnt vmcnt(32)
	v_mul_f32_e32 v15, v51, v67
	v_fmac_f32_e32 v15, v50, v66
	v_mul_f32_e32 v13, v50, v67
	buffer_store_dword v66, off, s[20:23], 0 offset:60 ; 4-byte Folded Spill
	s_nop 0
	buffer_store_dword v67, off, s[20:23], 0 offset:64 ; 4-byte Folded Spill
	v_fma_f32 v16, v51, v66, -v13
	v_add_u32_e32 v13, 0x3c00, v236
	ds_write2_b64 v13, v[25:26], v[15:16] offset0:84 offset1:144
	s_and_saveexec_b64 s[14:15], s[0:1]
	s_cbranch_execz .LBB0_3
; %bb.2:
	v_mov_b32_e32 v15, s17
	v_add_co_u32_e32 v6, vcc, s16, v6
	v_addc_co_u32_e32 v7, vcc, v7, v15, vcc
	global_load_dwordx2 v[15:16], v[6:7], off
	v_mov_b32_e32 v47, s13
	v_add_co_u32_e32 v6, vcc, s12, v6
	v_addc_co_u32_e32 v7, vcc, v7, v47, vcc
	global_load_dwordx2 v[17:18], v[6:7], off
	v_add_co_u32_e32 v6, vcc, s12, v6
	v_addc_co_u32_e32 v7, vcc, v7, v47, vcc
	global_load_dwordx2 v[19:20], v[6:7], off
	;; [unrolled: 3-line block ×3, first 2 shown]
	global_load_dwordx2 v[23:24], v[237:238], off offset:1440
	global_load_dwordx2 v[25:26], v[237:238], off offset:3168
	;; [unrolled: 1-line block ×4, first 2 shown]
	v_add_co_u32_e32 v2, vcc, s12, v6
	v_addc_co_u32_e32 v3, vcc, v7, v47, vcc
	global_load_dwordx2 v[6:7], v[2:3], off
	global_load_dwordx2 v[31:32], v[0:1], off offset:160
	v_add_co_u32_e32 v2, vcc, s12, v2
	v_addc_co_u32_e32 v3, vcc, v3, v47, vcc
	global_load_dwordx2 v[33:34], v[2:3], off
	v_add_co_u32_e32 v2, vcc, s12, v2
	v_addc_co_u32_e32 v3, vcc, v3, v47, vcc
	global_load_dwordx2 v[35:36], v[2:3], off
	v_add_co_u32_e32 v2, vcc, s12, v2
	v_addc_co_u32_e32 v3, vcc, v3, v47, vcc
	global_load_dwordx2 v[37:38], v[2:3], off
	global_load_dwordx2 v[39:40], v[0:1], off offset:1888
	global_load_dwordx2 v[41:42], v[0:1], off offset:3616
	global_load_dwordx2 v[43:44], v[4:5], off offset:1248
	v_add_co_u32_e32 v0, vcc, s12, v2
	v_addc_co_u32_e32 v1, vcc, v3, v47, vcc
	global_load_dwordx2 v[2:3], v[0:1], off
	global_load_dwordx2 v[45:46], v[4:5], off offset:2976
	v_add_co_u32_e32 v0, vcc, s12, v0
	v_addc_co_u32_e32 v1, vcc, v1, v47, vcc
	v_add_co_u32_e32 v4, vcc, 0x4000, v237
	v_addc_co_u32_e32 v5, vcc, 0, v238, vcc
	global_load_dwordx2 v[47:48], v[4:5], off offset:608
	global_load_dwordx2 v[49:50], v[0:1], off
	v_add_u32_e32 v51, 0x500, v236
	v_add_u32_e32 v52, 0x1200, v236
	s_waitcnt vmcnt(15)
	v_mul_f32_e32 v0, v16, v24
	v_mul_f32_e32 v1, v15, v24
	s_waitcnt vmcnt(14)
	v_mul_f32_e32 v4, v18, v26
	v_mul_f32_e32 v5, v17, v26
	v_fmac_f32_e32 v0, v15, v23
	v_fma_f32 v1, v16, v23, -v1
	v_fmac_f32_e32 v4, v17, v25
	v_fma_f32 v5, v18, v25, -v5
	s_waitcnt vmcnt(13)
	v_mul_f32_e32 v15, v20, v28
	v_mul_f32_e32 v16, v19, v28
	ds_write2_b64 v51, v[0:1], v[4:5] offset0:20 offset1:236
	s_waitcnt vmcnt(12)
	v_mul_f32_e32 v0, v22, v30
	v_mul_f32_e32 v1, v21, v30
	v_fmac_f32_e32 v15, v19, v27
	v_fma_f32 v16, v20, v27, -v16
	v_fmac_f32_e32 v0, v21, v29
	v_fma_f32 v1, v22, v29, -v1
	ds_write2_b64 v52, v[15:16], v[0:1] offset0:36 offset1:252
	s_waitcnt vmcnt(10)
	v_mul_f32_e32 v0, v6, v32
	v_mul_f32_e32 v4, v7, v32
	v_fma_f32 v5, v7, v31, -v0
	s_waitcnt vmcnt(6)
	v_mul_f32_e32 v0, v34, v40
	v_mul_f32_e32 v1, v33, v40
	v_fmac_f32_e32 v4, v6, v31
	v_fmac_f32_e32 v0, v33, v39
	v_fma_f32 v1, v34, v39, -v1
	ds_write2_b64 v10, v[4:5], v[0:1] offset0:20 offset1:236
	s_waitcnt vmcnt(5)
	v_mul_f32_e32 v0, v36, v42
	v_mul_f32_e32 v1, v35, v42
	s_waitcnt vmcnt(4)
	v_mul_f32_e32 v4, v38, v44
	v_mul_f32_e32 v5, v37, v44
	v_fmac_f32_e32 v0, v35, v41
	v_fma_f32 v1, v36, v41, -v1
	v_fmac_f32_e32 v4, v37, v43
	v_fma_f32 v5, v38, v43, -v5
	v_add_u32_e32 v6, 0x2e00, v236
	ds_write2_b64 v6, v[0:1], v[4:5] offset0:4 offset1:220
	s_waitcnt vmcnt(2)
	v_mul_f32_e32 v0, v3, v46
	v_mul_f32_e32 v1, v2, v46
	v_fmac_f32_e32 v0, v2, v45
	v_fma_f32 v1, v3, v45, -v1
	s_waitcnt vmcnt(0)
	v_mul_f32_e32 v2, v50, v48
	v_mul_f32_e32 v3, v49, v48
	v_fmac_f32_e32 v2, v49, v47
	v_fma_f32 v3, v50, v47, -v3
	v_add_u32_e32 v4, 0x3b00, v236
	ds_write2_b64 v4, v[0:1], v[2:3] offset0:20 offset1:236
.LBB0_3:
	s_or_b64 exec, exec, s[14:15]
	v_add_u32_e32 v0, 0x1000, v236
	s_waitcnt lgkmcnt(0)
	; wave barrier
	s_waitcnt lgkmcnt(0)
	ds_read2_b64 v[70:73], v236 offset1:60
	ds_read2_b64 v[20:23], v236 offset0:120 offset1:216
	ds_read2_b64 v[74:77], v8 offset0:176 offset1:236
	;; [unrolled: 1-line block ×4, first 2 shown]
	v_add_u32_e32 v0, 0x1c00, v236
	ds_read2_b64 v[54:57], v0 offset0:88 offset1:184
	ds_read2_b64 v[82:85], v14 offset0:16 offset1:76
	;; [unrolled: 1-line block ×4, first 2 shown]
	v_add_u32_e32 v0, 0x3800, v236
	ds_read2_b64 v[66:69], v0 offset0:56 offset1:152
	ds_read2_b64 v[24:27], v8 offset0:20 offset1:80
	;; [unrolled: 1-line block ×6, first 2 shown]
	s_load_dwordx2 s[4:5], s[4:5], 0x8
                                        ; implicit-def: $vgpr0
                                        ; implicit-def: $vgpr4
                                        ; implicit-def: $vgpr8
                                        ; implicit-def: $vgpr12
                                        ; implicit-def: $vgpr16
	s_and_saveexec_b64 s[12:13], s[0:1]
	s_cbranch_execz .LBB0_5
; %bb.4:
	v_add_u32_e32 v0, 0x500, v236
	v_add_u32_e32 v4, 0x1200, v236
	;; [unrolled: 1-line block ×5, first 2 shown]
	ds_read2_b64 v[0:3], v0 offset0:20 offset1:236
	ds_read2_b64 v[4:7], v4 offset0:36 offset1:252
	;; [unrolled: 1-line block ×5, first 2 shown]
.LBB0_5:
	s_or_b64 exec, exec, s[12:13]
	s_waitcnt lgkmcnt(0)
	v_add_f32_e32 v48, v70, v74
	v_add_f32_e32 v48, v48, v78
	v_add_f32_e32 v48, v48, v82
	v_add_f32_e32 v58, v48, v86
	v_add_f32_e32 v48, v78, v82
	v_fma_f32 v59, -0.5, v48, v70
	v_sub_f32_e32 v48, v75, v87
	v_mov_b32_e32 v64, v59
	v_fmac_f32_e32 v64, 0x3f737871, v48
	v_sub_f32_e32 v49, v79, v83
	v_sub_f32_e32 v50, v74, v78
	;; [unrolled: 1-line block ×3, first 2 shown]
	v_fmac_f32_e32 v59, 0xbf737871, v48
	v_fmac_f32_e32 v64, 0x3f167918, v49
	v_add_f32_e32 v50, v50, v51
	v_fmac_f32_e32 v59, 0xbf167918, v49
	v_fmac_f32_e32 v64, 0x3e9e377a, v50
	;; [unrolled: 1-line block ×3, first 2 shown]
	v_add_f32_e32 v50, v74, v86
	v_fma_f32 v65, -0.5, v50, v70
	v_mov_b32_e32 v70, v65
	v_fmac_f32_e32 v70, 0xbf737871, v49
	v_fmac_f32_e32 v65, 0x3f737871, v49
	;; [unrolled: 1-line block ×4, first 2 shown]
	v_add_f32_e32 v48, v71, v75
	v_add_f32_e32 v48, v48, v79
	;; [unrolled: 1-line block ×5, first 2 shown]
	v_sub_f32_e32 v50, v78, v74
	v_sub_f32_e32 v51, v82, v86
	v_fma_f32 v91, -0.5, v48, v71
	v_add_f32_e32 v50, v50, v51
	v_sub_f32_e32 v48, v74, v86
	v_mov_b32_e32 v74, v91
	v_fmac_f32_e32 v70, 0x3e9e377a, v50
	v_fmac_f32_e32 v65, 0x3e9e377a, v50
	;; [unrolled: 1-line block ×3, first 2 shown]
	v_sub_f32_e32 v49, v78, v82
	v_sub_f32_e32 v50, v75, v79
	;; [unrolled: 1-line block ×3, first 2 shown]
	v_fmac_f32_e32 v91, 0x3f737871, v48
	v_fmac_f32_e32 v74, 0xbf167918, v49
	v_add_f32_e32 v50, v50, v51
	v_fmac_f32_e32 v91, 0x3f167918, v49
	v_fmac_f32_e32 v74, 0x3e9e377a, v50
	;; [unrolled: 1-line block ×3, first 2 shown]
	v_add_f32_e32 v50, v75, v87
	v_fma_f32 v78, -0.5, v50, v71
	v_mov_b32_e32 v71, v78
	v_fmac_f32_e32 v71, 0x3f737871, v49
	v_fmac_f32_e32 v78, 0xbf737871, v49
	;; [unrolled: 1-line block ×4, first 2 shown]
	v_add_f32_e32 v48, v22, v46
	v_add_f32_e32 v48, v48, v56
	;; [unrolled: 1-line block ×3, first 2 shown]
	v_sub_f32_e32 v50, v79, v75
	v_add_f32_e32 v75, v48, v68
	v_add_f32_e32 v48, v56, v62
	v_sub_f32_e32 v51, v83, v87
	v_fma_f32 v79, -0.5, v48, v22
	v_add_f32_e32 v50, v50, v51
	v_sub_f32_e32 v48, v47, v69
	v_mov_b32_e32 v49, v79
	v_fmac_f32_e32 v71, 0x3e9e377a, v50
	v_fmac_f32_e32 v78, 0x3e9e377a, v50
	;; [unrolled: 1-line block ×3, first 2 shown]
	v_sub_f32_e32 v50, v57, v63
	v_sub_f32_e32 v51, v46, v56
	;; [unrolled: 1-line block ×3, first 2 shown]
	v_fmac_f32_e32 v79, 0xbf737871, v48
	v_fmac_f32_e32 v49, 0x3f167918, v50
	v_add_f32_e32 v51, v51, v52
	v_fmac_f32_e32 v79, 0xbf167918, v50
	v_fmac_f32_e32 v49, 0x3e9e377a, v51
	;; [unrolled: 1-line block ×3, first 2 shown]
	v_add_f32_e32 v51, v46, v68
	v_fma_f32 v22, -0.5, v51, v22
	v_mov_b32_e32 v51, v22
	v_fmac_f32_e32 v51, 0xbf737871, v50
	v_fmac_f32_e32 v22, 0x3f737871, v50
	;; [unrolled: 1-line block ×4, first 2 shown]
	v_add_f32_e32 v48, v23, v47
	v_add_f32_e32 v48, v48, v57
	;; [unrolled: 1-line block ×5, first 2 shown]
	v_sub_f32_e32 v52, v56, v46
	v_sub_f32_e32 v53, v62, v68
	v_fma_f32 v83, -0.5, v48, v23
	v_add_f32_e32 v52, v52, v53
	v_sub_f32_e32 v46, v46, v68
	v_mov_b32_e32 v53, v83
	v_fmac_f32_e32 v51, 0x3e9e377a, v52
	v_fmac_f32_e32 v22, 0x3e9e377a, v52
	;; [unrolled: 1-line block ×3, first 2 shown]
	v_sub_f32_e32 v48, v56, v62
	v_sub_f32_e32 v50, v47, v57
	;; [unrolled: 1-line block ×3, first 2 shown]
	v_fmac_f32_e32 v83, 0x3f737871, v46
	v_fmac_f32_e32 v53, 0xbf167918, v48
	v_add_f32_e32 v50, v50, v52
	v_fmac_f32_e32 v83, 0x3f167918, v48
	v_fmac_f32_e32 v53, 0x3e9e377a, v50
	v_fmac_f32_e32 v83, 0x3e9e377a, v50
	v_add_f32_e32 v50, v47, v69
	v_fma_f32 v23, -0.5, v50, v23
	v_mov_b32_e32 v62, v23
	s_movk_i32 s12, 0x78
	v_fmac_f32_e32 v62, 0x3f737871, v48
	v_sub_f32_e32 v47, v57, v47
	v_sub_f32_e32 v50, v63, v69
	v_fmac_f32_e32 v23, 0xbf737871, v48
	v_add_co_u32_e32 v146, vcc, s12, v239
	s_movk_i32 s12, 0xb4
	v_fmac_f32_e32 v62, 0xbf167918, v46
	v_add_f32_e32 v47, v47, v50
	v_fmac_f32_e32 v23, 0x3f167918, v46
	v_add_co_u32_e32 v145, vcc, s12, v239
	s_mov_b32 s12, 0x3f737871
	v_fmac_f32_e32 v62, 0x3e9e377a, v47
	v_fmac_f32_e32 v23, 0x3e9e377a, v47
	v_mul_f32_e32 v47, 0x3e9e377a, v22
	s_mov_b32 s14, 0xbf737871
	v_fma_f32 v86, v23, s12, -v47
	v_mul_f32_e32 v23, 0x3e9e377a, v23
	s_mov_b32 s15, 0xbf167918
	v_fma_f32 v22, v22, s14, -v23
	v_mul_f32_e32 v23, 0x3f4f1bbd, v83
	v_mul_f32_e32 v93, 0xbf737871, v51
	v_fma_f32 v23, v79, s15, -v23
	v_mul_f32_e32 v69, 0x3f737871, v62
	v_add_f32_e32 v52, v65, v86
	v_mul_f32_e32 v92, 0xbf167918, v49
	v_fmac_f32_e32 v93, 0x3e9e377a, v62
	v_add_f32_e32 v57, v91, v23
	v_sub_f32_e32 v62, v65, v86
	v_sub_f32_e32 v65, v91, v23
	v_add_f32_e32 v23, v80, v84
	v_mul_f32_e32 v63, 0x3f4f1bbd, v49
	v_fmac_f32_e32 v69, 0x3e9e377a, v51
	v_fmac_f32_e32 v92, 0x3f4f1bbd, v53
	v_fma_f32 v23, -0.5, v23, v72
	v_fmac_f32_e32 v63, 0x3f167918, v53
	v_add_f32_e32 v50, v70, v69
	v_add_f32_e32 v49, v74, v92
	v_sub_f32_e32 v70, v70, v69
	v_sub_f32_e32 v69, v74, v92
	;; [unrolled: 1-line block ×3, first 2 shown]
	v_mov_b32_e32 v86, v23
	v_add_f32_e32 v46, v58, v75
	v_add_f32_e32 v48, v64, v63
	v_mul_f32_e32 v47, 0x3f4f1bbd, v79
	v_add_f32_e32 v53, v78, v22
	v_sub_f32_e32 v58, v58, v75
	v_sub_f32_e32 v68, v64, v63
	;; [unrolled: 1-line block ×3, first 2 shown]
	v_fmac_f32_e32 v86, 0x3f737871, v74
	v_sub_f32_e32 v75, v81, v85
	v_sub_f32_e32 v78, v76, v80
	;; [unrolled: 1-line block ×3, first 2 shown]
	v_fmac_f32_e32 v23, 0xbf737871, v74
	v_fmac_f32_e32 v86, 0x3f167918, v75
	v_add_f32_e32 v78, v78, v79
	v_fmac_f32_e32 v23, 0xbf167918, v75
	s_mov_b32 s13, 0x3f167918
	v_fmac_f32_e32 v86, 0x3e9e377a, v78
	v_fmac_f32_e32 v23, 0x3e9e377a, v78
	v_add_f32_e32 v78, v76, v88
	v_fma_f32 v87, v83, s13, -v47
	v_add_f32_e32 v22, v72, v76
	v_fma_f32 v72, -0.5, v78, v72
	v_add_f32_e32 v56, v59, v87
	v_sub_f32_e32 v64, v59, v87
	v_mov_b32_e32 v87, v72
	v_fmac_f32_e32 v87, 0xbf737871, v75
	v_fmac_f32_e32 v72, 0x3f737871, v75
	;; [unrolled: 1-line block ×4, first 2 shown]
	v_add_f32_e32 v74, v73, v77
	v_add_f32_e32 v74, v74, v81
	;; [unrolled: 1-line block ×4, first 2 shown]
	v_sub_f32_e32 v59, v90, v82
	v_add_f32_e32 v22, v22, v80
	v_add_f32_e32 v90, v74, v89
	;; [unrolled: 1-line block ×4, first 2 shown]
	v_sub_f32_e32 v78, v80, v76
	v_sub_f32_e32 v79, v84, v88
	v_fma_f32 v91, -0.5, v74, v73
	v_add_f32_e32 v22, v22, v88
	v_add_f32_e32 v78, v78, v79
	v_sub_f32_e32 v74, v76, v88
	v_mov_b32_e32 v88, v91
	v_fmac_f32_e32 v87, 0x3e9e377a, v78
	v_fmac_f32_e32 v72, 0x3e9e377a, v78
	;; [unrolled: 1-line block ×3, first 2 shown]
	v_sub_f32_e32 v75, v80, v84
	v_sub_f32_e32 v76, v77, v81
	;; [unrolled: 1-line block ×3, first 2 shown]
	v_fmac_f32_e32 v91, 0x3f737871, v74
	v_fmac_f32_e32 v88, 0xbf167918, v75
	v_add_f32_e32 v76, v76, v78
	v_fmac_f32_e32 v91, 0x3f167918, v75
	v_fmac_f32_e32 v88, 0x3e9e377a, v76
	;; [unrolled: 1-line block ×3, first 2 shown]
	v_add_f32_e32 v76, v77, v89
	v_fmac_f32_e32 v73, -0.5, v76
	v_mov_b32_e32 v92, v73
	v_fmac_f32_e32 v92, 0x3f737871, v75
	v_fmac_f32_e32 v73, 0xbf737871, v75
	;; [unrolled: 1-line block ×4, first 2 shown]
	v_add_f32_e32 v74, v24, v28
	v_add_f32_e32 v74, v74, v32
	;; [unrolled: 1-line block ×5, first 2 shown]
	v_sub_f32_e32 v76, v81, v77
	v_sub_f32_e32 v77, v85, v89
	v_fma_f32 v83, -0.5, v74, v24
	v_add_f32_e32 v76, v76, v77
	v_sub_f32_e32 v74, v29, v41
	v_mov_b32_e32 v77, v83
	v_fmac_f32_e32 v92, 0x3e9e377a, v76
	v_fmac_f32_e32 v73, 0x3e9e377a, v76
	;; [unrolled: 1-line block ×3, first 2 shown]
	v_sub_f32_e32 v75, v33, v37
	v_sub_f32_e32 v76, v28, v32
	;; [unrolled: 1-line block ×3, first 2 shown]
	v_fmac_f32_e32 v83, 0xbf737871, v74
	v_fmac_f32_e32 v77, 0x3f167918, v75
	v_add_f32_e32 v76, v76, v78
	v_fmac_f32_e32 v83, 0xbf167918, v75
	v_fmac_f32_e32 v77, 0x3e9e377a, v76
	;; [unrolled: 1-line block ×3, first 2 shown]
	v_add_f32_e32 v76, v28, v40
	v_fma_f32 v24, -0.5, v76, v24
	v_mov_b32_e32 v79, v24
	v_fmac_f32_e32 v79, 0xbf737871, v75
	v_fmac_f32_e32 v24, 0x3f737871, v75
	;; [unrolled: 1-line block ×4, first 2 shown]
	v_add_f32_e32 v74, v25, v29
	v_add_f32_e32 v74, v74, v33
	;; [unrolled: 1-line block ×5, first 2 shown]
	v_fma_f32 v89, -0.5, v74, v25
	v_sub_f32_e32 v76, v32, v28
	v_sub_f32_e32 v78, v36, v40
	;; [unrolled: 1-line block ×3, first 2 shown]
	v_mov_b32_e32 v40, v89
	v_fmac_f32_e32 v40, 0xbf737871, v28
	v_sub_f32_e32 v32, v32, v36
	v_sub_f32_e32 v36, v29, v33
	;; [unrolled: 1-line block ×3, first 2 shown]
	v_fmac_f32_e32 v89, 0x3f737871, v28
	v_fmac_f32_e32 v40, 0xbf167918, v32
	v_add_f32_e32 v36, v36, v74
	v_fmac_f32_e32 v89, 0x3f167918, v32
	v_fmac_f32_e32 v40, 0x3e9e377a, v36
	;; [unrolled: 1-line block ×3, first 2 shown]
	v_add_f32_e32 v36, v29, v41
	v_fma_f32 v25, -0.5, v36, v25
	v_add_f32_e32 v76, v76, v78
	v_mov_b32_e32 v36, v25
	v_sub_f32_e32 v29, v33, v29
	v_sub_f32_e32 v33, v37, v41
	v_fmac_f32_e32 v25, 0xbf737871, v32
	v_fmac_f32_e32 v24, 0x3e9e377a, v76
	v_add_f32_e32 v29, v29, v33
	v_fmac_f32_e32 v25, 0x3f167918, v28
	v_fmac_f32_e32 v36, 0x3f737871, v32
	;; [unrolled: 1-line block ×3, first 2 shown]
	v_mul_f32_e32 v32, 0x3e9e377a, v24
	v_mul_f32_e32 v33, 0x3f4f1bbd, v83
	v_fmac_f32_e32 v36, 0xbf167918, v28
	v_fma_f32 v32, v25, s12, -v32
	v_fma_f32 v33, v89, s13, -v33
	v_mul_f32_e32 v25, 0x3e9e377a, v25
	v_fmac_f32_e32 v36, 0x3e9e377a, v29
	v_add_f32_e32 v82, v23, v33
	v_fma_f32 v24, v24, s14, -v25
	v_mul_f32_e32 v25, 0x3f4f1bbd, v89
	v_sub_f32_e32 v102, v23, v33
	v_add_f32_e32 v23, v54, v60
	v_fmac_f32_e32 v79, 0x3e9e377a, v76
	v_mul_f32_e32 v28, 0x3f4f1bbd, v77
	v_mul_f32_e32 v29, 0x3f737871, v36
	v_fma_f32 v25, v83, s15, -v25
	v_fma_f32 v23, -0.5, v23, v20
	v_fmac_f32_e32 v28, 0x3f167918, v40
	v_fmac_f32_e32 v29, 0x3e9e377a, v79
	v_add_f32_e32 v81, v73, v24
	v_add_f32_e32 v83, v91, v25
	v_sub_f32_e32 v101, v73, v24
	v_sub_f32_e32 v103, v91, v25
	;; [unrolled: 1-line block ×3, first 2 shown]
	v_mov_b32_e32 v25, v23
	v_add_f32_e32 v76, v86, v28
	v_add_f32_e32 v78, v87, v29
	;; [unrolled: 1-line block ×3, first 2 shown]
	v_sub_f32_e32 v96, v86, v28
	v_sub_f32_e32 v98, v87, v29
	;; [unrolled: 1-line block ×3, first 2 shown]
	v_fmac_f32_e32 v25, 0x3f737871, v24
	v_sub_f32_e32 v28, v55, v61
	v_sub_f32_e32 v29, v44, v54
	;; [unrolled: 1-line block ×3, first 2 shown]
	v_fmac_f32_e32 v23, 0xbf737871, v24
	v_fmac_f32_e32 v25, 0x3f167918, v28
	v_add_f32_e32 v29, v29, v32
	v_fmac_f32_e32 v23, 0xbf167918, v28
	v_fmac_f32_e32 v25, 0x3e9e377a, v29
	v_fmac_f32_e32 v23, 0x3e9e377a, v29
	v_add_f32_e32 v29, v44, v66
	v_add_f32_e32 v74, v22, v84
	v_sub_f32_e32 v84, v22, v84
	v_add_f32_e32 v22, v20, v44
	v_fma_f32 v20, -0.5, v29, v20
	v_mov_b32_e32 v29, v20
	v_mul_f32_e32 v37, 0xbf167918, v77
	v_fmac_f32_e32 v29, 0xbf737871, v28
	v_sub_f32_e32 v32, v54, v44
	v_sub_f32_e32 v33, v60, v66
	v_fmac_f32_e32 v20, 0x3f737871, v28
	v_add_f32_e32 v28, v55, v61
	v_fmac_f32_e32 v37, 0x3f4f1bbd, v40
	v_mul_f32_e32 v40, 0xbf737871, v79
	v_fmac_f32_e32 v29, 0x3f167918, v24
	v_add_f32_e32 v32, v32, v33
	v_fmac_f32_e32 v20, 0xbf167918, v24
	v_fma_f32 v28, -0.5, v28, v21
	v_fmac_f32_e32 v40, 0x3e9e377a, v36
	v_fmac_f32_e32 v29, 0x3e9e377a, v32
	;; [unrolled: 1-line block ×3, first 2 shown]
	v_sub_f32_e32 v32, v44, v66
	v_mov_b32_e32 v33, v28
	v_add_f32_e32 v77, v88, v37
	v_add_f32_e32 v79, v92, v40
	v_sub_f32_e32 v97, v88, v37
	v_sub_f32_e32 v99, v92, v40
	v_fmac_f32_e32 v33, 0xbf737871, v32
	v_sub_f32_e32 v36, v54, v60
	v_sub_f32_e32 v37, v45, v55
	;; [unrolled: 1-line block ×3, first 2 shown]
	v_fmac_f32_e32 v28, 0x3f737871, v32
	v_fmac_f32_e32 v33, 0xbf167918, v36
	v_add_f32_e32 v37, v37, v40
	v_fmac_f32_e32 v28, 0x3f167918, v36
	v_fmac_f32_e32 v33, 0x3e9e377a, v37
	;; [unrolled: 1-line block ×3, first 2 shown]
	v_add_f32_e32 v37, v45, v67
	v_add_f32_e32 v24, v21, v45
	v_fmac_f32_e32 v21, -0.5, v37
	v_mov_b32_e32 v44, v21
	v_fmac_f32_e32 v44, 0x3f737871, v36
	v_fmac_f32_e32 v21, 0xbf737871, v36
	v_add_f32_e32 v36, v34, v38
	v_sub_f32_e32 v37, v55, v45
	v_sub_f32_e32 v40, v61, v67
	v_fma_f32 v45, -0.5, v36, v26
	v_fmac_f32_e32 v44, 0xbf167918, v32
	v_add_f32_e32 v37, v37, v40
	v_fmac_f32_e32 v21, 0x3f167918, v32
	v_sub_f32_e32 v36, v31, v43
	v_mov_b32_e32 v41, v45
	v_add_f32_e32 v22, v22, v54
	v_fmac_f32_e32 v44, 0x3e9e377a, v37
	v_fmac_f32_e32 v21, 0x3e9e377a, v37
	;; [unrolled: 1-line block ×3, first 2 shown]
	v_sub_f32_e32 v37, v35, v39
	v_sub_f32_e32 v40, v30, v34
	;; [unrolled: 1-line block ×3, first 2 shown]
	v_fmac_f32_e32 v45, 0xbf737871, v36
	v_fmac_f32_e32 v41, 0x3f167918, v37
	v_add_f32_e32 v40, v40, v54
	v_fmac_f32_e32 v45, 0xbf167918, v37
	v_fmac_f32_e32 v41, 0x3e9e377a, v40
	;; [unrolled: 1-line block ×3, first 2 shown]
	v_add_f32_e32 v40, v30, v42
	v_add_f32_e32 v32, v26, v30
	v_fma_f32 v26, -0.5, v40, v26
	v_mov_b32_e32 v54, v26
	v_fmac_f32_e32 v54, 0xbf737871, v37
	v_fmac_f32_e32 v26, 0x3f737871, v37
	;; [unrolled: 1-line block ×4, first 2 shown]
	v_add_f32_e32 v36, v27, v31
	v_add_f32_e32 v36, v36, v35
	;; [unrolled: 1-line block ×3, first 2 shown]
	v_sub_f32_e32 v40, v34, v30
	v_sub_f32_e32 v55, v38, v42
	v_add_f32_e32 v36, v36, v39
	v_add_f32_e32 v40, v40, v55
	;; [unrolled: 1-line block ×5, first 2 shown]
	v_fma_f32 v60, -0.5, v36, v27
	v_add_f32_e32 v24, v24, v61
	v_sub_f32_e32 v30, v30, v42
	v_mov_b32_e32 v61, v60
	v_add_f32_e32 v32, v32, v34
	v_fmac_f32_e32 v61, 0xbf737871, v30
	v_sub_f32_e32 v34, v34, v38
	v_sub_f32_e32 v36, v31, v35
	;; [unrolled: 1-line block ×3, first 2 shown]
	v_fmac_f32_e32 v60, 0x3f737871, v30
	v_fmac_f32_e32 v61, 0xbf167918, v34
	v_add_f32_e32 v36, v36, v37
	v_fmac_f32_e32 v60, 0x3f167918, v34
	v_fmac_f32_e32 v61, 0x3e9e377a, v36
	;; [unrolled: 1-line block ×3, first 2 shown]
	v_add_f32_e32 v36, v31, v43
	v_fmac_f32_e32 v27, -0.5, v36
	v_add_f32_e32 v22, v22, v66
	v_mov_b32_e32 v66, v27
	v_sub_f32_e32 v31, v35, v31
	v_sub_f32_e32 v35, v39, v43
	v_fmac_f32_e32 v27, 0xbf737871, v34
	v_fmac_f32_e32 v26, 0x3e9e377a, v40
	v_add_f32_e32 v31, v31, v35
	v_fmac_f32_e32 v27, 0x3f167918, v30
	v_fmac_f32_e32 v66, 0x3f737871, v34
	v_fmac_f32_e32 v27, 0x3e9e377a, v31
	v_mul_f32_e32 v34, 0x3e9e377a, v26
	v_add_f32_e32 v32, v32, v38
	v_fma_f32 v34, v27, s12, -v34
	v_mul_f32_e32 v27, 0x3e9e377a, v27
	v_add_f32_e32 v32, v32, v42
	v_add_f32_e32 v42, v20, v34
	v_fma_f32 v26, v26, s14, -v27
	v_sub_f32_e32 v112, v20, v34
	v_add_f32_e32 v20, v8, v12
	v_add_f32_e32 v24, v24, v67
	v_fmac_f32_e32 v66, 0xbf167918, v30
	v_mul_f32_e32 v30, 0x3f4f1bbd, v41
	v_mul_f32_e32 v35, 0x3f4f1bbd, v45
	v_add_f32_e32 v43, v21, v26
	v_sub_f32_e32 v113, v21, v26
	v_fma_f32 v21, -0.5, v20, v0
	v_fmac_f32_e32 v30, 0x3f167918, v61
	v_fma_f32 v35, v60, s13, -v35
	v_add_f32_e32 v37, v24, v55
	v_sub_f32_e32 v107, v24, v55
	v_sub_f32_e32 v24, v5, v17
	v_mov_b32_e32 v20, v21
	v_add_f32_e32 v36, v22, v32
	v_add_f32_e32 v38, v25, v30
	;; [unrolled: 1-line block ×3, first 2 shown]
	v_sub_f32_e32 v106, v22, v32
	v_sub_f32_e32 v108, v25, v30
	;; [unrolled: 1-line block ×3, first 2 shown]
	v_fmac_f32_e32 v20, 0x3f737871, v24
	v_sub_f32_e32 v25, v9, v13
	v_sub_f32_e32 v22, v4, v8
	;; [unrolled: 1-line block ×3, first 2 shown]
	v_fmac_f32_e32 v21, 0xbf737871, v24
	v_fmac_f32_e32 v20, 0x3f167918, v25
	v_add_f32_e32 v22, v22, v23
	v_fmac_f32_e32 v21, 0xbf167918, v25
	v_fmac_f32_e32 v20, 0x3e9e377a, v22
	;; [unrolled: 1-line block ×3, first 2 shown]
	v_add_f32_e32 v22, v4, v16
	v_fma_f32 v23, -0.5, v22, v0
	v_mov_b32_e32 v22, v23
	v_mul_f32_e32 v27, 0x3f4f1bbd, v60
	v_fmac_f32_e32 v22, 0xbf737871, v25
	v_fmac_f32_e32 v23, 0x3f737871, v25
	;; [unrolled: 1-line block ×3, first 2 shown]
	v_fma_f32 v27, v45, s15, -v27
	v_fmac_f32_e32 v22, 0x3f167918, v24
	v_fmac_f32_e32 v23, 0xbf167918, v24
	v_add_f32_e32 v24, v9, v13
	v_fmac_f32_e32 v54, 0x3e9e377a, v40
	v_mul_f32_e32 v31, 0x3f737871, v66
	v_add_f32_e32 v105, v28, v27
	v_sub_f32_e32 v115, v28, v27
	v_sub_f32_e32 v26, v8, v4
	;; [unrolled: 1-line block ×3, first 2 shown]
	v_fma_f32 v25, -0.5, v24, v1
	v_fmac_f32_e32 v31, 0x3e9e377a, v54
	v_add_f32_e32 v26, v26, v27
	v_sub_f32_e32 v28, v4, v16
	v_mov_b32_e32 v24, v25
	v_add_f32_e32 v40, v29, v31
	v_sub_f32_e32 v110, v29, v31
	v_fmac_f32_e32 v22, 0x3e9e377a, v26
	v_fmac_f32_e32 v23, 0x3e9e377a, v26
	;; [unrolled: 1-line block ×3, first 2 shown]
	v_sub_f32_e32 v29, v8, v12
	v_sub_f32_e32 v26, v5, v9
	;; [unrolled: 1-line block ×3, first 2 shown]
	v_fmac_f32_e32 v25, 0x3f737871, v28
	v_fmac_f32_e32 v24, 0xbf167918, v29
	v_add_f32_e32 v26, v26, v27
	v_fmac_f32_e32 v25, 0x3f167918, v29
	v_fmac_f32_e32 v24, 0x3e9e377a, v26
	;; [unrolled: 1-line block ×3, first 2 shown]
	v_add_f32_e32 v26, v5, v17
	v_fma_f32 v27, -0.5, v26, v1
	v_mov_b32_e32 v26, v27
	v_fmac_f32_e32 v26, 0x3f737871, v29
	v_fmac_f32_e32 v27, 0xbf737871, v29
	;; [unrolled: 1-line block ×4, first 2 shown]
	v_add_f32_e32 v28, v10, v14
	v_sub_f32_e32 v30, v9, v5
	v_sub_f32_e32 v31, v13, v17
	v_fma_f32 v35, -0.5, v28, v2
	v_add_f32_e32 v30, v30, v31
	v_sub_f32_e32 v28, v7, v19
	v_mov_b32_e32 v32, v35
	v_fmac_f32_e32 v26, 0x3e9e377a, v30
	v_fmac_f32_e32 v27, 0x3e9e377a, v30
	;; [unrolled: 1-line block ×3, first 2 shown]
	v_sub_f32_e32 v29, v11, v15
	v_sub_f32_e32 v30, v6, v10
	;; [unrolled: 1-line block ×3, first 2 shown]
	v_fmac_f32_e32 v35, 0xbf737871, v28
	v_fmac_f32_e32 v32, 0x3f167918, v29
	v_add_f32_e32 v30, v30, v31
	v_fmac_f32_e32 v35, 0xbf167918, v29
	v_mul_f32_e32 v67, 0xbf167918, v41
	v_fmac_f32_e32 v32, 0x3e9e377a, v30
	v_fmac_f32_e32 v35, 0x3e9e377a, v30
	v_add_f32_e32 v30, v6, v18
	v_fmac_f32_e32 v67, 0x3f4f1bbd, v61
	v_fma_f32 v34, -0.5, v30, v2
	v_add_f32_e32 v39, v33, v67
	v_sub_f32_e32 v109, v33, v67
	v_mov_b32_e32 v33, v34
	v_mul_f32_e32 v54, 0xbf737871, v54
	v_fmac_f32_e32 v33, 0xbf737871, v29
	v_fmac_f32_e32 v34, 0x3f737871, v29
	;; [unrolled: 1-line block ×5, first 2 shown]
	v_add_f32_e32 v28, v11, v15
	v_add_f32_e32 v41, v44, v54
	v_sub_f32_e32 v111, v44, v54
	v_sub_f32_e32 v30, v10, v6
	v_sub_f32_e32 v31, v14, v18
	v_fma_f32 v44, -0.5, v28, v3
	v_add_f32_e32 v30, v30, v31
	v_sub_f32_e32 v28, v6, v18
	v_mov_b32_e32 v45, v44
	v_fmac_f32_e32 v33, 0x3e9e377a, v30
	v_fmac_f32_e32 v34, 0x3e9e377a, v30
	;; [unrolled: 1-line block ×3, first 2 shown]
	v_sub_f32_e32 v29, v10, v14
	v_sub_f32_e32 v30, v7, v11
	;; [unrolled: 1-line block ×3, first 2 shown]
	v_fmac_f32_e32 v44, 0x3f737871, v28
	v_fmac_f32_e32 v45, 0xbf167918, v29
	v_add_f32_e32 v30, v30, v31
	v_fmac_f32_e32 v44, 0x3f167918, v29
	v_fmac_f32_e32 v45, 0x3e9e377a, v30
	;; [unrolled: 1-line block ×3, first 2 shown]
	v_add_f32_e32 v30, v7, v19
	v_fma_f32 v54, -0.5, v30, v3
	v_sub_f32_e32 v30, v11, v7
	v_sub_f32_e32 v31, v15, v19
	v_add_f32_e32 v30, v30, v31
	v_mul_f32_e32 v31, 0x3f4f1bbd, v35
	v_mov_b32_e32 v55, v54
	v_fma_f32 v31, v44, s13, -v31
	v_mul_f32_e32 v44, 0x3f4f1bbd, v44
	v_fmac_f32_e32 v55, 0x3f737871, v29
	v_fma_f32 v35, v35, s15, -v44
	v_mul_lo_u16_e32 v44, 10, v239
	v_add_co_u32_e32 v144, vcc, 60, v239
	v_fmac_f32_e32 v55, 0xbf167918, v28
	v_fmac_f32_e32 v54, 0xbf737871, v29
	v_lshlrev_b32_e32 v44, 3, v44
	v_add_f32_e32 v51, v71, v93
	v_sub_f32_e32 v71, v71, v93
	v_fmac_f32_e32 v55, 0x3e9e377a, v30
	v_fmac_f32_e32 v54, 0x3f167918, v28
	s_waitcnt lgkmcnt(0)
	; wave barrier
	ds_write_b128 v44, v[46:49]
	ds_write_b128 v44, v[50:53] offset:16
	ds_write_b128 v44, v[56:59] offset:32
	;; [unrolled: 1-line block ×3, first 2 shown]
	buffer_store_dword v44, off, s[20:23], 0 offset:360 ; 4-byte Folded Spill
	ds_write_b128 v44, v[62:65] offset:64
	v_mul_u32_u24_e32 v44, 10, v144
	v_add_f32_e32 v75, v90, v85
	v_fmac_f32_e32 v54, 0x3e9e377a, v30
	v_mul_f32_e32 v28, 0x3f4f1bbd, v32
	v_mul_f32_e32 v29, 0x3f737871, v55
	;; [unrolled: 1-line block ×3, first 2 shown]
	v_lshlrev_b32_e32 v44, 3, v44
	v_sub_f32_e32 v85, v90, v85
	v_fmac_f32_e32 v28, 0x3f167918, v45
	v_fmac_f32_e32 v29, 0x3e9e377a, v33
	v_mul_f32_e32 v30, 0x3e9e377a, v34
	v_fmac_f32_e32 v32, 0x3f4f1bbd, v45
	v_mul_f32_e32 v33, 0xbf737871, v33
	v_mul_f32_e32 v45, 0x3e9e377a, v54
	ds_write_b128 v44, v[74:77]
	ds_write_b128 v44, v[78:81] offset:16
	ds_write_b128 v44, v[82:85] offset:32
	ds_write_b128 v44, v[96:99] offset:48
	buffer_store_dword v44, off, s[20:23], 0 offset:364 ; 4-byte Folded Spill
	ds_write_b128 v44, v[100:103] offset:64
	v_mul_u32_u24_e32 v44, 10, v146
	v_fma_f32 v30, v54, s12, -v30
	v_fmac_f32_e32 v33, 0x3e9e377a, v55
	v_fma_f32 v34, v34, s14, -v45
	v_lshlrev_b32_e32 v44, 3, v44
	v_sub_f32_e32 v88, v20, v28
	v_sub_f32_e32 v90, v22, v29
	;; [unrolled: 1-line block ×8, first 2 shown]
	ds_write_b128 v44, v[36:39]
	ds_write_b128 v44, v[40:43] offset:16
	ds_write_b128 v44, v[104:107] offset:32
	;; [unrolled: 1-line block ×3, first 2 shown]
	v_mul_u32_u24_e32 v36, 10, v145
	buffer_store_dword v44, off, s[20:23], 0 offset:368 ; 4-byte Folded Spill
	ds_write_b128 v44, v[112:115] offset:64
	buffer_store_dword v36, off, s[20:23], 0 offset:376 ; 4-byte Folded Spill
	s_and_saveexec_b64 s[12:13], s[0:1]
	s_cbranch_execz .LBB0_7
; %bb.6:
	v_add_f32_e32 v0, v0, v4
	v_add_f32_e32 v1, v1, v5
	v_add_f32_e32 v0, v0, v8
	v_add_f32_e32 v1, v1, v9
	v_add_f32_e32 v0, v0, v12
	v_add_f32_e32 v1, v1, v13
	v_add_f32_e32 v8, v0, v16
	v_add_f32_e32 v0, v2, v6
	v_add_f32_e32 v9, v1, v17
	v_add_f32_e32 v1, v3, v7
	v_add_f32_e32 v0, v0, v10
	v_add_f32_e32 v1, v1, v11
	v_add_f32_e32 v0, v0, v14
	v_add_f32_e32 v1, v1, v15
	v_add_f32_e32 v12, v0, v18
	v_add_f32_e32 v13, v1, v19
	v_sub_f32_e32 v2, v8, v12
	v_add_f32_e32 v8, v8, v12
	v_mul_u32_u24_e32 v12, 10, v145
	v_sub_f32_e32 v3, v9, v13
	v_add_f32_e32 v11, v24, v32
	v_add_f32_e32 v9, v9, v13
	;; [unrolled: 1-line block ×3, first 2 shown]
	v_lshlrev_b32_e32 v12, 3, v12
	v_add_f32_e32 v1, v25, v35
	v_add_f32_e32 v7, v27, v34
	;; [unrolled: 1-line block ×6, first 2 shown]
	ds_write_b128 v12, v[8:11]
	ds_write_b128 v12, v[4:7] offset:16
	ds_write_b128 v12, v[0:3] offset:32
	;; [unrolled: 1-line block ×4, first 2 shown]
.LBB0_7:
	s_or_b64 exec, exec, s[12:13]
	s_movk_i32 s14, 0xcd
	v_mul_lo_u16_sdwa v0, v239, s14 dst_sel:DWORD dst_unused:UNUSED_PAD src0_sel:BYTE_0 src1_sel:DWORD
	v_lshrrev_b16_e32 v8, 11, v0
	v_mul_lo_u16_e32 v0, 10, v8
	v_sub_u16_e32 v0, v239, v0
	v_and_b32_e32 v9, 0xff, v0
	v_mad_u64_u32 v[0:1], s[12:13], v9, 40, s[4:5]
	v_mul_lo_u16_sdwa v2, v144, s14 dst_sel:DWORD dst_unused:UNUSED_PAD src0_sel:BYTE_0 src1_sel:DWORD
	v_lshrrev_b16_e32 v10, 11, v2
	s_waitcnt lgkmcnt(0)
	; wave barrier
	s_waitcnt lgkmcnt(0)
	global_load_dwordx4 v[100:103], v[0:1], off
	global_load_dwordx4 v[96:99], v[0:1], off offset:16
	v_mul_lo_u16_e32 v2, 10, v10
	v_sub_u16_e32 v2, v144, v2
	v_and_b32_e32 v11, 0xff, v2
	v_mad_u64_u32 v[12:13], s[12:13], v11, 40, s[4:5]
	global_load_dwordx2 v[224:225], v[0:1], off offset:32
	v_mul_lo_u16_sdwa v14, v146, s14 dst_sel:DWORD dst_unused:UNUSED_PAD src0_sel:BYTE_0 src1_sel:DWORD
	global_load_dwordx4 v[104:107], v[12:13], off
	v_lshrrev_b16_e32 v14, 11, v14
	v_add_u32_e32 v173, 0x800, v236
	v_add_u32_e32 v176, 0x2000, v236
	;; [unrolled: 1-line block ×3, first 2 shown]
	v_mul_lo_u16_e32 v15, 10, v14
	ds_read2_b64 v[21:24], v236 offset1:60
	v_add_u32_e32 v5, 0x1400, v236
	v_add_u32_e32 v171, 0x2800, v236
	;; [unrolled: 1-line block ×3, first 2 shown]
	ds_read2_b64 v[0:3], v236 offset0:120 offset1:180
	v_add_u32_e32 v4, 0xc00, v236
	v_add_u32_e32 v172, 0x3000, v236
	ds_read2_b64 v[25:28], v173 offset0:104 offset1:164
	ds_read2_b64 v[33:36], v5 offset0:80 offset1:140
	;; [unrolled: 1-line block ×9, first 2 shown]
	global_load_dwordx4 v[132:135], v[12:13], off offset:16
	global_load_dwordx2 v[226:227], v[12:13], off offset:32
	v_sub_u16_e32 v15, v146, v15
	v_mul_lo_u16_sdwa v12, v145, s14 dst_sel:DWORD dst_unused:UNUSED_PAD src0_sel:BYTE_0 src1_sel:DWORD
	v_and_b32_e32 v16, 0xff, v15
	v_lshrrev_b16_e32 v13, 11, v12
	v_mad_u64_u32 v[17:18], s[12:13], v16, 40, s[4:5]
	v_mul_lo_u16_e32 v12, 10, v13
	v_sub_u16_e32 v12, v145, v12
	v_add_u32_e32 v29, 0x1000, v236
	v_and_b32_e32 v15, 0xff, v12
	v_add_u32_e32 v253, 0x400, v236
	ds_read2_b64 v[69:72], v29 offset0:88 offset1:148
	v_mov_b32_e32 v198, v29
	v_mad_u64_u32 v[29:30], s[12:13], v15, 40, s[4:5]
	v_add_u32_e32 v20, 0xf0, v239
	s_mov_b32 s15, 0xcccd
	v_mov_b32_e32 v161, v5
	v_mov_b32_e32 v197, v4
	ds_read2_b64 v[65:68], v174 offset0:128 offset1:188
	ds_read2_b64 v[4:7], v253 offset0:112 offset1:172
	;; [unrolled: 1-line block ×4, first 2 shown]
	global_load_dwordx4 v[140:143], v[17:18], off
	v_mul_u32_u24_sdwa v12, v20, s15 dst_sel:DWORD dst_unused:UNUSED_PAD src0_sel:WORD_0 src1_sel:DWORD
	v_add_u32_e32 v19, 0x3c00, v236
	ds_read2_b64 v[81:84], v172 offset0:144 offset1:204
	ds_read2_b64 v[147:150], v19 offset0:120 offset1:180
	buffer_store_dword v239, off, s[20:23], 0 ; 4-byte Folded Spill
	global_load_dwordx4 v[116:119], v[17:18], off offset:16
	v_lshrrev_b32_e32 v12, 19, v12
	v_mov_b32_e32 v163, v19
	v_mul_lo_u16_e32 v19, 10, v12
	global_load_dwordx2 v[228:229], v[29:30], off offset:32
	global_load_dwordx4 v[112:115], v[29:30], off offset:16
	global_load_dwordx2 v[230:231], v[17:18], off offset:32
	global_load_dwordx4 v[128:131], v[29:30], off
	v_add_u32_e32 v32, 0x12c, v239
	v_mul_u32_u24_e32 v8, 60, v8
	v_add_lshl_u32 v8, v8, v9, 3
	s_movk_i32 s14, 0x89
	v_mov_b32_e32 v199, v161
	v_mov_b32_e32 v203, v163
	s_waitcnt vmcnt(12) lgkmcnt(14)
	v_mul_f32_e32 v17, v26, v101
	v_mul_f32_e32 v18, v34, v103
	v_fma_f32 v87, v25, v100, -v17
	v_sub_u16_e32 v17, v20, v19
	v_fma_f32 v151, v33, v102, -v18
	v_mul_lo_u16_e32 v18, 40, v17
	v_mul_f32_e32 v30, v33, v103
	v_mov_b32_e32 v33, s5
	v_add_co_u32_e32 v18, vcc, s4, v18
	v_addc_co_u32_e32 v19, vcc, 0, v33, vcc
	global_load_dwordx4 v[108:111], v[18:19], off offset:16
	global_load_dwordx4 v[120:123], v[18:19], off
	global_load_dwordx2 v[232:233], v[18:19], off offset:32
	v_mul_u32_u24_sdwa v18, v32, s15 dst_sel:DWORD dst_unused:UNUSED_PAD src0_sel:WORD_0 src1_sel:DWORD
	v_lshrrev_b32_e32 v18, 19, v18
	v_mul_f32_e32 v29, v25, v101
	s_waitcnt vmcnt(14) lgkmcnt(13)
	v_mul_f32_e32 v85, v37, v97
	s_waitcnt vmcnt(13) lgkmcnt(11)
	v_mul_f32_e32 v25, v46, v225
	v_mul_lo_u16_e32 v19, 10, v18
	v_mul_f32_e32 v31, v38, v97
	v_mul_f32_e32 v86, v42, v99
	v_fmac_f32_e32 v85, v38, v96
	v_fma_f32 v38, v45, v224, -v25
	s_waitcnt vmcnt(12)
	v_mul_f32_e32 v25, v28, v105
	v_sub_u16_e32 v19, v32, v19
	v_fmac_f32_e32 v30, v34, v102
	v_fma_f32 v31, v37, v96, -v31
	v_fma_f32 v34, v41, v98, -v86
	v_mul_f32_e32 v37, v41, v99
	v_mul_f32_e32 v41, v45, v225
	v_fma_f32 v45, v27, v104, -v25
	v_mul_lo_u16_e32 v25, 40, v19
	v_add_co_u32_e32 v25, vcc, s4, v25
	v_fmac_f32_e32 v29, v26, v100
	v_addc_co_u32_e32 v26, vcc, 0, v33, vcc
	global_load_dwordx4 v[136:139], v[25:26], off
	global_load_dwordx2 v[234:235], v[25:26], off offset:32
	global_load_dwordx4 v[124:127], v[25:26], off offset:16
	v_fmac_f32_e32 v41, v46, v224
	v_mul_f32_e32 v46, v27, v105
	v_mul_f32_e32 v27, v36, v107
	v_fmac_f32_e32 v37, v42, v98
	v_fma_f32 v42, v35, v106, -v27
	s_waitcnt vmcnt(14)
	v_mul_f32_e32 v27, v40, v133
	v_fma_f32 v152, v39, v132, -v27
	v_mul_f32_e32 v39, v39, v133
	v_mul_f32_e32 v25, v44, v135
	v_fmac_f32_e32 v39, v40, v132
	v_fma_f32 v40, v43, v134, -v25
	v_mul_f32_e32 v43, v43, v135
	s_waitcnt vmcnt(13)
	v_mul_f32_e32 v25, v48, v227
	v_fmac_f32_e32 v43, v44, v134
	v_fma_f32 v44, v47, v226, -v25
	s_waitcnt vmcnt(12) lgkmcnt(10)
	v_mul_f32_e32 v25, v50, v141
	v_mul_f32_e32 v47, v47, v227
	v_fma_f32 v153, v49, v140, -v25
	s_waitcnt lgkmcnt(9)
	v_mul_f32_e32 v25, v54, v143
	v_fmac_f32_e32 v47, v48, v226
	v_mul_f32_e32 v154, v49, v141
	v_fma_f32 v48, v53, v142, -v25
	s_waitcnt vmcnt(10) lgkmcnt(8)
	v_mul_f32_e32 v25, v58, v117
	v_fmac_f32_e32 v154, v50, v140
	v_mul_f32_e32 v49, v53, v143
	v_fma_f32 v50, v57, v116, -v25
	s_waitcnt lgkmcnt(7)
	v_mul_f32_e32 v25, v62, v119
	v_fmac_f32_e32 v49, v54, v142
	v_mul_f32_e32 v53, v57, v117
	v_fma_f32 v54, v61, v118, -v25
	s_waitcnt vmcnt(7) lgkmcnt(5)
	v_mul_f32_e32 v25, v66, v231
	v_fmac_f32_e32 v53, v58, v116
	v_fma_f32 v58, v65, v230, -v25
	s_waitcnt vmcnt(6)
	v_mul_f32_e32 v25, v52, v129
	v_mul_f32_e32 v57, v61, v119
	;; [unrolled: 1-line block ×3, first 2 shown]
	v_fma_f32 v65, v51, v128, -v25
	v_mul_f32_e32 v25, v56, v131
	v_fmac_f32_e32 v57, v62, v118
	v_fma_f32 v62, v55, v130, -v25
	v_mul_f32_e32 v25, v60, v113
	v_fma_f32 v156, v59, v112, -v25
	v_mul_f32_e32 v59, v59, v113
	v_mul_f32_e32 v25, v64, v115
	v_fmac_f32_e32 v59, v60, v112
	v_fma_f32 v60, v63, v114, -v25
	v_mul_f32_e32 v63, v63, v115
	v_mul_f32_e32 v25, v68, v229
	v_fmac_f32_e32 v63, v64, v114
	v_fma_f32 v64, v67, v228, -v25
	v_mul_f32_e32 v67, v67, v229
	v_fmac_f32_e32 v67, v68, v228
	s_waitcnt vmcnt(4)
	v_mul_f32_e32 v25, v70, v121
	v_fma_f32 v157, v69, v120, -v25
	s_waitcnt lgkmcnt(3)
	v_mul_f32_e32 v25, v74, v123
	v_mul_f32_e32 v158, v69, v121
	v_fma_f32 v68, v73, v122, -v25
	s_waitcnt lgkmcnt(2)
	v_mul_f32_e32 v25, v78, v109
	v_fmac_f32_e32 v158, v70, v120
	v_mul_f32_e32 v69, v73, v123
	v_fma_f32 v70, v77, v108, -v25
	s_waitcnt lgkmcnt(1)
	v_mul_f32_e32 v25, v82, v111
	v_fmac_f32_e32 v69, v74, v122
	v_mul_f32_e32 v73, v77, v109
	v_fma_f32 v74, v81, v110, -v25
	s_waitcnt vmcnt(3) lgkmcnt(0)
	v_mul_f32_e32 v25, v148, v233
	v_fmac_f32_e32 v73, v78, v108
	v_fma_f32 v78, v147, v232, -v25
	v_mul_f32_e32 v77, v81, v111
	v_mul_f32_e32 v81, v147, v233
	v_fmac_f32_e32 v77, v82, v110
	v_mul_f32_e32 v86, v35, v107
	v_fmac_f32_e32 v86, v36, v106
	v_fmac_f32_e32 v61, v66, v230
	v_mul_f32_e32 v66, v51, v129
	v_fmac_f32_e32 v66, v52, v128
	v_mul_f32_e32 v155, v55, v131
	v_fmac_f32_e32 v155, v56, v130
	s_waitcnt vmcnt(2)
	v_mul_f32_e32 v25, v72, v137
	v_fma_f32 v147, v71, v136, -v25
	v_mul_f32_e32 v25, v76, v139
	v_fma_f32 v82, v75, v138, -v25
	s_waitcnt vmcnt(0)
	v_mul_f32_e32 v25, v80, v125
	v_fma_f32 v160, v79, v124, -v25
	v_mul_f32_e32 v79, v79, v125
	v_mul_f32_e32 v25, v84, v127
	v_fmac_f32_e32 v79, v80, v124
	v_fma_f32 v80, v83, v126, -v25
	v_mul_f32_e32 v83, v83, v127
	v_mul_f32_e32 v25, v150, v235
	v_fmac_f32_e32 v83, v84, v126
	v_fma_f32 v84, v149, v234, -v25
	v_add_f32_e32 v25, v21, v151
	v_add_f32_e32 v35, v25, v34
	;; [unrolled: 1-line block ×3, first 2 shown]
	v_fma_f32 v36, -0.5, v25, v21
	v_sub_f32_e32 v21, v30, v37
	v_mov_b32_e32 v51, v36
	v_fmac_f32_e32 v51, 0x3f5db3d7, v21
	v_fmac_f32_e32 v36, 0xbf5db3d7, v21
	v_add_f32_e32 v21, v22, v30
	v_add_f32_e32 v52, v21, v37
	;; [unrolled: 1-line block ×3, first 2 shown]
	v_fma_f32 v37, -0.5, v21, v22
	v_sub_f32_e32 v21, v151, v34
	v_mov_b32_e32 v55, v37
	v_fmac_f32_e32 v55, 0xbf5db3d7, v21
	v_fmac_f32_e32 v37, 0x3f5db3d7, v21
	v_add_f32_e32 v21, v87, v31
	v_add_f32_e32 v30, v21, v38
	;; [unrolled: 1-line block ×3, first 2 shown]
	v_fmac_f32_e32 v87, -0.5, v21
	v_sub_f32_e32 v21, v85, v41
	v_mov_b32_e32 v26, v87
	v_fmac_f32_e32 v26, 0x3f5db3d7, v21
	v_fmac_f32_e32 v87, 0xbf5db3d7, v21
	v_add_f32_e32 v21, v29, v85
	v_add_f32_e32 v56, v21, v41
	;; [unrolled: 1-line block ×3, first 2 shown]
	v_fmac_f32_e32 v29, -0.5, v21
	v_fmac_f32_e32 v46, v28, v104
	v_sub_f32_e32 v21, v31, v38
	v_mov_b32_e32 v28, v29
	v_fmac_f32_e32 v28, 0xbf5db3d7, v21
	v_fmac_f32_e32 v29, 0x3f5db3d7, v21
	v_mul_f32_e32 v38, -0.5, v87
	v_mul_f32_e32 v31, 0x3f5db3d7, v28
	v_fmac_f32_e32 v38, 0x3f5db3d7, v29
	v_fmac_f32_e32 v31, 0.5, v26
	v_add_f32_e32 v27, v36, v38
	v_sub_f32_e32 v36, v36, v38
	v_add_f32_e32 v38, v42, v40
	v_add_f32_e32 v25, v51, v31
	v_sub_f32_e32 v34, v51, v31
	v_add_f32_e32 v31, v23, v42
	v_fma_f32 v23, -0.5, v38, v23
	v_sub_f32_e32 v38, v86, v43
	v_mov_b32_e32 v51, v23
	v_fmac_f32_e32 v51, 0x3f5db3d7, v38
	v_fmac_f32_e32 v23, 0xbf5db3d7, v38
	v_add_f32_e32 v38, v24, v86
	v_fmac_f32_e32 v81, v148, v232
	v_mul_f32_e32 v148, v71, v137
	v_add_f32_e32 v21, v35, v30
	v_add_f32_e32 v22, v52, v56
	v_mul_f32_e32 v41, 0xbf5db3d7, v26
	v_mul_f32_e32 v71, -0.5, v29
	v_sub_f32_e32 v29, v35, v30
	v_sub_f32_e32 v30, v52, v56
	v_add_f32_e32 v52, v38, v43
	v_add_f32_e32 v38, v86, v43
	v_fmac_f32_e32 v41, 0.5, v28
	v_fmac_f32_e32 v24, -0.5, v38
	v_add_f32_e32 v26, v55, v41
	v_sub_f32_e32 v35, v55, v41
	v_sub_f32_e32 v38, v42, v40
	v_mov_b32_e32 v55, v24
	v_fmac_f32_e32 v55, 0xbf5db3d7, v38
	v_fmac_f32_e32 v24, 0x3f5db3d7, v38
	v_add_f32_e32 v38, v45, v152
	v_add_f32_e32 v56, v38, v44
	;; [unrolled: 1-line block ×3, first 2 shown]
	v_fmac_f32_e32 v45, -0.5, v38
	v_sub_f32_e32 v38, v39, v47
	v_mov_b32_e32 v41, v45
	v_fmac_f32_e32 v71, 0xbf5db3d7, v87
	v_fmac_f32_e32 v41, 0x3f5db3d7, v38
	;; [unrolled: 1-line block ×3, first 2 shown]
	v_add_f32_e32 v38, v46, v39
	v_add_f32_e32 v28, v37, v71
	v_sub_f32_e32 v37, v37, v71
	v_add_f32_e32 v71, v38, v47
	v_add_f32_e32 v38, v39, v47
	v_fmac_f32_e32 v46, -0.5, v38
	v_sub_f32_e32 v38, v152, v44
	v_mov_b32_e32 v43, v46
	v_fmac_f32_e32 v43, 0xbf5db3d7, v38
	v_mul_f32_e32 v47, 0x3f5db3d7, v43
	v_fmac_f32_e32 v148, v72, v136
	v_mul_f32_e32 v159, v75, v139
	v_fmac_f32_e32 v46, 0x3f5db3d7, v38
	v_fmac_f32_e32 v47, 0.5, v41
	v_mul_f32_e32 v72, -0.5, v45
	v_mul_f32_e32 v75, 0xbf5db3d7, v41
	v_fmac_f32_e32 v159, v76, v138
	v_add_f32_e32 v31, v31, v40
	v_add_f32_e32 v40, v51, v47
	v_fmac_f32_e32 v72, 0x3f5db3d7, v46
	v_fmac_f32_e32 v75, 0.5, v43
	v_mul_f32_e32 v76, -0.5, v46
	v_sub_f32_e32 v46, v51, v47
	v_add_f32_e32 v51, v48, v54
	v_add_f32_e32 v41, v55, v75
	v_sub_f32_e32 v47, v55, v75
	v_fma_f32 v55, -0.5, v51, v0
	v_add_f32_e32 v38, v31, v56
	v_sub_f32_e32 v44, v31, v56
	v_add_f32_e32 v31, v0, v48
	v_sub_f32_e32 v0, v49, v57
	v_mov_b32_e32 v56, v55
	v_fmac_f32_e32 v56, 0x3f5db3d7, v0
	v_fmac_f32_e32 v55, 0xbf5db3d7, v0
	v_add_f32_e32 v0, v1, v49
	v_add_f32_e32 v39, v52, v71
	v_fmac_f32_e32 v76, 0xbf5db3d7, v45
	v_sub_f32_e32 v45, v52, v71
	v_add_f32_e32 v71, v0, v57
	v_add_f32_e32 v0, v49, v57
	v_fma_f32 v57, -0.5, v0, v1
	v_add_f32_e32 v42, v23, v72
	v_sub_f32_e32 v23, v23, v72
	v_sub_f32_e32 v0, v48, v54
	v_mov_b32_e32 v72, v57
	v_fmac_f32_e32 v72, 0xbf5db3d7, v0
	v_fmac_f32_e32 v57, 0x3f5db3d7, v0
	v_add_f32_e32 v0, v153, v50
	v_add_f32_e32 v52, v0, v58
	;; [unrolled: 1-line block ×3, first 2 shown]
	v_fmac_f32_e32 v153, -0.5, v0
	v_sub_f32_e32 v0, v53, v61
	v_mov_b32_e32 v49, v153
	v_fmac_f32_e32 v49, 0x3f5db3d7, v0
	v_fmac_f32_e32 v153, 0xbf5db3d7, v0
	v_add_f32_e32 v0, v154, v53
	v_add_f32_e32 v75, v0, v61
	;; [unrolled: 1-line block ×3, first 2 shown]
	v_fmac_f32_e32 v154, -0.5, v0
	v_sub_f32_e32 v0, v50, v58
	v_mov_b32_e32 v51, v154
	v_fmac_f32_e32 v51, 0xbf5db3d7, v0
	v_fmac_f32_e32 v154, 0x3f5db3d7, v0
	v_mul_f32_e32 v53, 0x3f5db3d7, v51
	v_mul_f32_e32 v58, -0.5, v153
	v_fmac_f32_e32 v53, 0.5, v49
	v_fmac_f32_e32 v58, 0x3f5db3d7, v154
	v_add_f32_e32 v31, v31, v54
	v_add_f32_e32 v48, v56, v53
	;; [unrolled: 1-line block ×3, first 2 shown]
	v_sub_f32_e32 v54, v56, v53
	v_sub_f32_e32 v56, v55, v58
	v_add_f32_e32 v58, v62, v60
	v_add_f32_e32 v0, v31, v52
	v_sub_f32_e32 v52, v31, v52
	v_add_f32_e32 v31, v2, v62
	v_fma_f32 v2, -0.5, v58, v2
	v_add_f32_e32 v1, v71, v75
	v_mul_f32_e32 v61, 0xbf5db3d7, v49
	v_sub_f32_e32 v53, v71, v75
	v_sub_f32_e32 v58, v155, v63
	v_mov_b32_e32 v71, v2
	v_fmac_f32_e32 v61, 0.5, v51
	v_fmac_f32_e32 v71, 0x3f5db3d7, v58
	v_fmac_f32_e32 v2, 0xbf5db3d7, v58
	v_add_f32_e32 v58, v3, v155
	v_add_f32_e32 v49, v72, v61
	v_sub_f32_e32 v55, v72, v61
	v_add_f32_e32 v72, v58, v63
	v_add_f32_e32 v58, v155, v63
	v_fmac_f32_e32 v3, -0.5, v58
	v_add_f32_e32 v43, v24, v76
	v_sub_f32_e32 v24, v24, v76
	v_mul_f32_e32 v76, -0.5, v154
	v_sub_f32_e32 v58, v62, v60
	v_mov_b32_e32 v75, v3
	v_fmac_f32_e32 v76, 0xbf5db3d7, v153
	v_fmac_f32_e32 v75, 0xbf5db3d7, v58
	;; [unrolled: 1-line block ×3, first 2 shown]
	v_add_f32_e32 v58, v65, v156
	v_add_f32_e32 v51, v57, v76
	v_sub_f32_e32 v57, v57, v76
	v_add_f32_e32 v76, v58, v64
	v_add_f32_e32 v58, v156, v64
	v_fmac_f32_e32 v65, -0.5, v58
	v_sub_f32_e32 v58, v59, v67
	v_mov_b32_e32 v61, v65
	v_fmac_f32_e32 v61, 0x3f5db3d7, v58
	v_fmac_f32_e32 v65, 0xbf5db3d7, v58
	v_add_f32_e32 v58, v66, v59
	v_add_f32_e32 v85, v58, v67
	;; [unrolled: 1-line block ×3, first 2 shown]
	v_fmac_f32_e32 v66, -0.5, v58
	v_sub_f32_e32 v58, v156, v64
	v_mov_b32_e32 v63, v66
	v_fmac_f32_e32 v63, 0xbf5db3d7, v58
	v_mul_f32_e32 v67, 0x3f5db3d7, v63
	v_mul_f32_e32 v149, v149, v235
	v_fmac_f32_e32 v66, 0x3f5db3d7, v58
	v_fmac_f32_e32 v67, 0.5, v61
	v_mul_f32_e32 v86, -0.5, v65
	v_mul_f32_e32 v87, 0xbf5db3d7, v61
	v_fmac_f32_e32 v149, v150, v234
	v_add_f32_e32 v31, v31, v60
	v_add_f32_e32 v60, v71, v67
	v_fmac_f32_e32 v86, 0x3f5db3d7, v66
	v_fmac_f32_e32 v87, 0.5, v63
	v_mul_f32_e32 v150, -0.5, v66
	v_sub_f32_e32 v66, v71, v67
	v_add_f32_e32 v71, v68, v74
	v_add_f32_e32 v61, v75, v87
	v_sub_f32_e32 v67, v75, v87
	v_fma_f32 v75, -0.5, v71, v4
	v_add_f32_e32 v58, v31, v76
	v_sub_f32_e32 v64, v31, v76
	v_add_f32_e32 v31, v4, v68
	v_sub_f32_e32 v4, v69, v77
	v_mov_b32_e32 v76, v75
	v_fmac_f32_e32 v76, 0x3f5db3d7, v4
	v_fmac_f32_e32 v75, 0xbf5db3d7, v4
	v_add_f32_e32 v4, v5, v69
	v_add_f32_e32 v59, v72, v85
	v_fmac_f32_e32 v150, 0xbf5db3d7, v65
	v_sub_f32_e32 v65, v72, v85
	v_add_f32_e32 v85, v4, v77
	v_add_f32_e32 v4, v69, v77
	v_fma_f32 v77, -0.5, v4, v5
	v_add_f32_e32 v62, v2, v86
	v_sub_f32_e32 v2, v2, v86
	v_sub_f32_e32 v4, v68, v74
	v_mov_b32_e32 v86, v77
	v_fmac_f32_e32 v86, 0xbf5db3d7, v4
	v_fmac_f32_e32 v77, 0x3f5db3d7, v4
	v_add_f32_e32 v4, v157, v70
	v_add_f32_e32 v72, v4, v78
	;; [unrolled: 1-line block ×3, first 2 shown]
	v_fmac_f32_e32 v157, -0.5, v4
	v_sub_f32_e32 v4, v73, v81
	v_mov_b32_e32 v69, v157
	v_fmac_f32_e32 v69, 0x3f5db3d7, v4
	v_fmac_f32_e32 v157, 0xbf5db3d7, v4
	v_add_f32_e32 v4, v158, v73
	v_add_f32_e32 v87, v4, v81
	;; [unrolled: 1-line block ×3, first 2 shown]
	v_fmac_f32_e32 v158, -0.5, v4
	v_sub_f32_e32 v4, v70, v78
	v_mov_b32_e32 v71, v158
	v_fmac_f32_e32 v71, 0xbf5db3d7, v4
	v_fmac_f32_e32 v158, 0x3f5db3d7, v4
	v_mul_f32_e32 v73, 0x3f5db3d7, v71
	v_mul_f32_e32 v78, -0.5, v157
	v_fmac_f32_e32 v73, 0.5, v69
	v_fmac_f32_e32 v78, 0x3f5db3d7, v158
	v_add_f32_e32 v31, v31, v74
	v_add_f32_e32 v68, v76, v73
	;; [unrolled: 1-line block ×3, first 2 shown]
	v_sub_f32_e32 v74, v76, v73
	v_sub_f32_e32 v76, v75, v78
	v_add_f32_e32 v78, v82, v80
	v_add_f32_e32 v4, v31, v72
	v_sub_f32_e32 v72, v31, v72
	v_add_f32_e32 v31, v6, v82
	v_fma_f32 v6, -0.5, v78, v6
	v_add_f32_e32 v5, v85, v87
	v_sub_f32_e32 v73, v85, v87
	v_sub_f32_e32 v78, v159, v83
	v_mov_b32_e32 v85, v6
	v_fmac_f32_e32 v85, 0x3f5db3d7, v78
	v_fmac_f32_e32 v6, 0xbf5db3d7, v78
	v_add_f32_e32 v78, v7, v159
	v_add_f32_e32 v63, v3, v150
	v_sub_f32_e32 v3, v3, v150
	v_mul_f32_e32 v150, -0.5, v158
	v_add_f32_e32 v87, v78, v83
	v_add_f32_e32 v78, v159, v83
	v_mul_f32_e32 v81, 0xbf5db3d7, v69
	v_fmac_f32_e32 v150, 0xbf5db3d7, v157
	v_fmac_f32_e32 v7, -0.5, v78
	v_fmac_f32_e32 v81, 0.5, v71
	v_add_f32_e32 v71, v77, v150
	v_sub_f32_e32 v77, v77, v150
	v_sub_f32_e32 v78, v82, v80
	v_mov_b32_e32 v150, v7
	v_fmac_f32_e32 v150, 0xbf5db3d7, v78
	v_fmac_f32_e32 v7, 0x3f5db3d7, v78
	v_add_f32_e32 v78, v147, v160
	v_add_f32_e32 v69, v86, v81
	v_sub_f32_e32 v75, v86, v81
	v_add_f32_e32 v86, v78, v84
	v_add_f32_e32 v78, v160, v84
	v_fmac_f32_e32 v147, -0.5, v78
	s_waitcnt lgkmcnt(0)
	; wave barrier
	ds_write2_b64 v8, v[21:22], v[25:26] offset1:10
	ds_write2_b64 v8, v[27:28], v[29:30] offset0:20 offset1:30
	buffer_store_dword v8, off, s[20:23], 0 offset:356 ; 4-byte Folded Spill
	ds_write2_b64 v8, v[34:35], v[36:37] offset0:40 offset1:50
	v_mul_u32_u24_e32 v8, 60, v10
	v_sub_f32_e32 v78, v79, v149
	v_mov_b32_e32 v81, v147
	v_add_lshl_u32 v8, v8, v11, 3
	v_fmac_f32_e32 v81, 0x3f5db3d7, v78
	v_fmac_f32_e32 v147, 0xbf5db3d7, v78
	v_add_f32_e32 v78, v148, v79
	ds_write2_b64 v8, v[38:39], v[40:41] offset1:10
	ds_write2_b64 v8, v[42:43], v[44:45] offset0:20 offset1:30
	buffer_store_dword v8, off, s[20:23], 0 offset:348 ; 4-byte Folded Spill
	ds_write2_b64 v8, v[46:47], v[23:24] offset0:40 offset1:50
	v_mul_u32_u24_e32 v8, 60, v14
	v_add_f32_e32 v151, v78, v149
	v_add_f32_e32 v78, v79, v149
	v_add_lshl_u32 v8, v8, v16, 3
	v_fmac_f32_e32 v148, -0.5, v78
	ds_write2_b64 v8, v[0:1], v[48:49] offset1:10
	ds_write2_b64 v8, v[50:51], v[52:53] offset0:20 offset1:30
	v_mul_u32_u24_e32 v0, 60, v13
	v_sub_f32_e32 v78, v160, v84
	v_mov_b32_e32 v83, v148
	v_add_lshl_u32 v0, v0, v15, 3
	v_fmac_f32_e32 v83, 0xbf5db3d7, v78
	v_fmac_f32_e32 v148, 0x3f5db3d7, v78
	v_mul_f32_e32 v152, -0.5, v147
	buffer_store_dword v8, off, s[20:23], 0 offset:276 ; 4-byte Folded Spill
	ds_write2_b64 v8, v[54:55], v[56:57] offset0:40 offset1:50
	ds_write2_b64 v0, v[58:59], v[60:61] offset1:10
	ds_write2_b64 v0, v[62:63], v[64:65] offset0:20 offset1:30
	buffer_store_dword v0, off, s[20:23], 0 offset:280 ; 4-byte Folded Spill
	ds_write2_b64 v0, v[66:67], v[2:3] offset0:40 offset1:50
	v_mad_legacy_u16 v0, v12, 60, v17
	v_mad_u64_u32 v[56:57], s[12:13], v239, 40, s[4:5]
	v_mul_f32_e32 v149, 0x3f5db3d7, v83
	v_fmac_f32_e32 v152, 0x3f5db3d7, v148
	v_mul_f32_e32 v153, 0xbf5db3d7, v81
	v_mul_f32_e32 v148, -0.5, v148
	v_lshlrev_b32_e32 v0, 3, v0
	v_add_f32_e32 v31, v31, v80
	v_fmac_f32_e32 v149, 0.5, v81
	v_fmac_f32_e32 v153, 0.5, v83
	v_fmac_f32_e32 v148, 0xbf5db3d7, v147
	ds_write2_b64 v0, v[4:5], v[68:69] offset1:10
	ds_write2_b64 v0, v[70:71], v[72:73] offset0:20 offset1:30
	buffer_store_dword v0, off, s[20:23], 0 offset:284 ; 4-byte Folded Spill
	ds_write2_b64 v0, v[74:75], v[76:77] offset0:40 offset1:50
	v_mad_legacy_u16 v0, v18, 60, v19
	v_add_f32_e32 v78, v31, v86
	v_add_f32_e32 v80, v85, v149
	;; [unrolled: 1-line block ×6, first 2 shown]
	v_sub_f32_e32 v84, v31, v86
	v_sub_f32_e32 v86, v85, v149
	v_sub_f32_e32 v6, v6, v152
	v_sub_f32_e32 v85, v87, v151
	v_sub_f32_e32 v87, v150, v153
	v_sub_f32_e32 v7, v7, v148
	v_lshlrev_b32_e32 v0, 3, v0
	ds_write2_b64 v0, v[78:79], v[80:81] offset1:10
	ds_write2_b64 v0, v[82:83], v[84:85] offset0:20 offset1:30
	buffer_store_dword v0, off, s[20:23], 0 offset:288 ; 4-byte Folded Spill
	ds_write2_b64 v0, v[86:87], v[6:7] offset0:40 offset1:50
	s_waitcnt lgkmcnt(0)
	; wave barrier
	s_waitcnt lgkmcnt(0)
	global_load_dwordx4 v[8:11], v[56:57], off offset:400
	global_load_dwordx4 v[0:3], v[56:57], off offset:416
	global_load_dwordx2 v[240:241], v[56:57], off offset:432
	v_mul_lo_u16_sdwa v4, v146, s14 dst_sel:DWORD dst_unused:UNUSED_PAD src0_sel:BYTE_0 src1_sel:DWORD
	v_lshrrev_b16_e32 v4, 13, v4
	v_mul_lo_u16_e32 v4, 60, v4
	v_sub_u16_e32 v4, v146, v4
	v_and_b32_e32 v48, 0xff, v4
	v_mad_u64_u32 v[4:5], s[12:13], v48, 40, s[4:5]
	ds_read2_b64 v[52:55], v236 offset1:60
	ds_read2_b64 v[58:61], v173 offset0:104 offset1:164
	ds_read2_b64 v[62:65], v161 offset0:80 offset1:140
	;; [unrolled: 1-line block ×15, first 2 shown]
	global_load_dwordx4 v[16:19], v[4:5], off offset:400
	ds_read2_b64 v[185:188], v172 offset0:144 offset1:204
	ds_read2_b64 v[189:192], v163 offset0:120 offset1:180
	v_mul_lo_u16_sdwa v12, v145, s14 dst_sel:DWORD dst_unused:UNUSED_PAD src0_sel:BYTE_0 src1_sel:DWORD
	v_lshrrev_b16_e32 v12, 13, v12
	v_mul_lo_u16_e32 v12, 60, v12
	v_sub_u16_e32 v12, v145, v12
	v_and_b32_e32 v49, 0xff, v12
	v_mad_u64_u32 v[21:22], s[12:13], v49, 40, s[4:5]
	s_mov_b32 s12, 0x8889
	s_movk_i32 s14, 0x1000
	v_mov_b32_e32 v239, v198
	s_movk_i32 s13, 0x2000
	s_waitcnt vmcnt(3) lgkmcnt(14)
	v_mul_f32_e32 v6, v59, v9
	v_fma_f32 v86, v58, v8, -v6
	global_load_dwordx2 v[168:169], v[4:5], off offset:432
	s_nop 0
	global_load_dwordx4 v[4:7], v[4:5], off offset:416
	v_mul_f32_e32 v12, v63, v11
	v_fma_f32 v145, v62, v10, -v12
	v_mul_f32_e32 v62, v62, v11
	s_waitcnt vmcnt(4)
	v_mul_f32_e32 v23, v67, v1
	v_fmac_f32_e32 v62, v63, v10
	v_fma_f32 v63, v66, v0, -v23
	v_mul_f32_e32 v66, v66, v1
	s_waitcnt lgkmcnt(13)
	v_mul_f32_e32 v23, v71, v3
	global_load_dwordx4 v[12:15], v[21:22], off offset:416
	global_load_dwordx4 v[28:31], v[21:22], off offset:400
	v_fmac_f32_e32 v66, v67, v0
	v_fma_f32 v67, v70, v2, -v23
	v_mul_f32_e32 v70, v70, v3
	global_load_dwordx2 v[193:194], v[21:22], off offset:432
	v_mul_u32_u24_sdwa v21, v20, s12 dst_sel:DWORD dst_unused:UNUSED_PAD src0_sel:WORD_0 src1_sel:DWORD
	s_waitcnt vmcnt(6) lgkmcnt(12)
	v_mul_f32_e32 v22, v75, v241
	v_lshrrev_b32_e32 v21, 21, v21
	v_fmac_f32_e32 v70, v71, v2
	v_fma_f32 v71, v74, v240, -v22
	v_mul_f32_e32 v74, v74, v241
	v_mul_f32_e32 v34, v61, v9
	v_mul_lo_u16_e32 v21, 60, v21
	v_fmac_f32_e32 v74, v75, v240
	v_fma_f32 v75, v60, v8, -v34
	v_mul_u32_u24_sdwa v34, v32, s12 dst_sel:DWORD dst_unused:UNUSED_PAD src0_sel:WORD_0 src1_sel:DWORD
	v_sub_u16_e32 v50, v20, v21
	v_lshrrev_b32_e32 v34, 21, v34
	v_mul_lo_u16_e32 v20, 40, v50
	v_mul_lo_u16_e32 v34, 60, v34
	v_add_co_u32_e32 v20, vcc, s4, v20
	v_sub_u16_e32 v51, v32, v34
	v_addc_co_u32_e32 v21, vcc, 0, v33, vcc
	v_mul_lo_u16_e32 v32, 40, v51
	v_mul_f32_e32 v87, v58, v9
	v_add_co_u32_e32 v58, vcc, s4, v32
	v_fmac_f32_e32 v87, v59, v8
	v_addc_co_u32_e32 v59, vcc, 0, v33, vcc
	v_mul_f32_e32 v146, v60, v9
	v_mul_f32_e32 v60, v65, v11
	;; [unrolled: 1-line block ×3, first 2 shown]
	global_load_dwordx4 v[24:27], v[20:21], off offset:400
	global_load_dwordx2 v[195:196], v[20:21], off offset:432
	s_nop 0
	global_load_dwordx4 v[20:23], v[20:21], off offset:416
	s_nop 0
	global_load_dwordx4 v[32:35], v[58:59], off offset:416
	global_load_dwordx4 v[36:39], v[58:59], off offset:400
	v_fma_f32 v163, v64, v10, -v60
	v_fmac_f32_e32 v164, v65, v10
	global_load_dwordx2 v[64:65], v[58:59], off offset:432
	s_waitcnt vmcnt(11) lgkmcnt(10)
	v_mul_f32_e32 v58, v79, v17
	v_fma_f32 v166, v78, v16, -v58
	v_mul_f32_e32 v167, v78, v17
	s_waitcnt lgkmcnt(9)
	v_mul_f32_e32 v58, v83, v19
	v_fmac_f32_e32 v167, v79, v16
	v_fma_f32 v78, v82, v18, -v58
	v_mul_f32_e32 v79, v82, v19
	v_fmac_f32_e32 v79, v83, v18
	v_mul_f32_e32 v60, v69, v1
	v_fma_f32 v165, v68, v0, -v60
	v_mul_f32_e32 v68, v68, v1
	v_mul_f32_e32 v60, v73, v3
	v_fmac_f32_e32 v68, v69, v0
	v_fma_f32 v69, v72, v2, -v60
	v_mul_f32_e32 v72, v72, v3
	v_mul_f32_e32 v60, v77, v241
	v_fmac_f32_e32 v72, v73, v2
	v_fma_f32 v73, v76, v240, -v60
	v_mul_f32_e32 v76, v76, v241
	v_fmac_f32_e32 v76, v77, v240
	v_fmac_f32_e32 v146, v61, v8
	s_movk_i32 s12, 0x3000
	s_waitcnt vmcnt(9) lgkmcnt(8)
	v_mul_f32_e32 v58, v148, v5
	v_fma_f32 v82, v147, v4, -v58
	v_mul_f32_e32 v83, v147, v5
	s_waitcnt lgkmcnt(7)
	v_mul_f32_e32 v58, v152, v7
	v_fmac_f32_e32 v83, v148, v4
	v_fma_f32 v147, v151, v6, -v58
	v_mul_f32_e32 v148, v151, v7
	s_waitcnt lgkmcnt(6)
	v_mul_f32_e32 v58, v156, v169
	v_fmac_f32_e32 v148, v152, v6
	v_fma_f32 v151, v155, v168, -v58
	v_mul_f32_e32 v152, v155, v169
	buffer_store_dword v168, off, s[20:23], 0 offset:260 ; 4-byte Folded Spill
	s_nop 0
	buffer_store_dword v169, off, s[20:23], 0 offset:264 ; 4-byte Folded Spill
	s_waitcnt vmcnt(9)
	v_mul_f32_e32 v58, v81, v29
	v_fma_f32 v155, v80, v28, -v58
	v_mul_f32_e32 v58, v85, v31
	v_mul_f32_e32 v169, v84, v31
	v_fmac_f32_e32 v169, v85, v30
	v_fmac_f32_e32 v152, v156, v168
	v_fma_f32 v168, v84, v30, -v58
	v_mul_f32_e32 v58, v150, v13
	v_fma_f32 v175, v149, v12, -v58
	v_mul_f32_e32 v149, v149, v13
	v_mul_f32_e32 v58, v154, v15
	v_fmac_f32_e32 v149, v150, v12
	v_fma_f32 v150, v153, v14, -v58
	v_mul_f32_e32 v153, v153, v15
	s_waitcnt vmcnt(8)
	v_mul_f32_e32 v58, v158, v194
	v_fmac_f32_e32 v153, v154, v14
	v_fma_f32 v154, v157, v193, -v58
	v_mul_f32_e32 v157, v157, v194
	buffer_store_dword v193, off, s[20:23], 0 offset:268 ; 4-byte Folded Spill
	s_nop 0
	buffer_store_dword v194, off, s[20:23], 0 offset:272 ; 4-byte Folded Spill
	s_waitcnt vmcnt(9) lgkmcnt(4)
	v_mul_f32_e32 v58, v160, v25
	v_mul_f32_e32 v156, v80, v29
	v_fmac_f32_e32 v156, v81, v28
	v_fmac_f32_e32 v157, v158, v193
	v_fma_f32 v158, v159, v24, -v58
	v_mul_f32_e32 v159, v159, v25
	s_waitcnt lgkmcnt(3)
	v_mul_f32_e32 v58, v178, v27
	v_fmac_f32_e32 v159, v160, v24
	v_fma_f32 v160, v177, v26, -v58
	v_mul_f32_e32 v177, v177, v27
	s_waitcnt vmcnt(7) lgkmcnt(2)
	v_mul_f32_e32 v58, v182, v21
	v_fmac_f32_e32 v177, v178, v26
	v_fma_f32 v178, v181, v20, -v58
	v_mul_f32_e32 v181, v181, v21
	s_waitcnt lgkmcnt(1)
	v_mul_f32_e32 v58, v186, v23
	v_fmac_f32_e32 v181, v182, v20
	v_fma_f32 v182, v185, v22, -v58
	v_mul_f32_e32 v185, v185, v23
	s_waitcnt lgkmcnt(0)
	v_mul_f32_e32 v58, v190, v196
	v_fmac_f32_e32 v185, v186, v22
	v_fma_f32 v186, v189, v195, -v58
	v_mul_f32_e32 v189, v189, v196
	buffer_store_dword v195, off, s[20:23], 0 offset:292 ; 4-byte Folded Spill
	s_nop 0
	buffer_store_dword v196, off, s[20:23], 0 offset:296 ; 4-byte Folded Spill
	s_waitcnt vmcnt(7)
	v_mul_f32_e32 v58, v162, v37
	v_mul_f32_e32 v193, v161, v37
	v_fmac_f32_e32 v193, v162, v36
	v_fmac_f32_e32 v189, v190, v195
	v_fma_f32 v190, v161, v36, -v58
	v_mul_f32_e32 v58, v180, v39
	v_fma_f32 v194, v179, v38, -v58
	v_mul_f32_e32 v179, v179, v39
	v_mul_f32_e32 v58, v184, v33
	v_fmac_f32_e32 v179, v180, v38
	v_fma_f32 v180, v183, v32, -v58
	v_mul_f32_e32 v183, v183, v33
	v_mul_f32_e32 v58, v188, v35
	v_fmac_f32_e32 v183, v184, v32
	v_fma_f32 v184, v187, v34, -v58
	v_mul_f32_e32 v187, v187, v35
	s_waitcnt vmcnt(6)
	v_mul_f32_e32 v58, v192, v65
	v_fmac_f32_e32 v187, v188, v34
	v_fma_f32 v188, v191, v64, -v58
	v_mul_f32_e32 v191, v191, v65
	buffer_store_dword v64, off, s[20:23], 0 offset:300 ; 4-byte Folded Spill
	s_nop 0
	buffer_store_dword v65, off, s[20:23], 0 offset:304 ; 4-byte Folded Spill
	v_add_f32_e32 v58, v52, v145
	s_waitcnt lgkmcnt(0)
	; wave barrier
	v_fmac_f32_e32 v191, v192, v64
	v_add_f32_e32 v64, v58, v67
	v_add_f32_e32 v58, v145, v67
	v_fma_f32 v65, -0.5, v58, v52
	v_sub_f32_e32 v52, v62, v70
	v_mov_b32_e32 v77, v65
	v_fmac_f32_e32 v77, 0x3f5db3d7, v52
	v_fmac_f32_e32 v65, 0xbf5db3d7, v52
	v_add_f32_e32 v52, v53, v62
	v_add_f32_e32 v80, v52, v70
	;; [unrolled: 1-line block ×3, first 2 shown]
	v_fma_f32 v70, -0.5, v52, v53
	v_sub_f32_e32 v52, v145, v67
	v_mov_b32_e32 v67, v70
	v_fmac_f32_e32 v67, 0xbf5db3d7, v52
	v_fmac_f32_e32 v70, 0x3f5db3d7, v52
	v_add_f32_e32 v52, v86, v63
	v_add_f32_e32 v62, v52, v71
	;; [unrolled: 1-line block ×3, first 2 shown]
	v_fmac_f32_e32 v86, -0.5, v52
	v_sub_f32_e32 v52, v66, v74
	v_mov_b32_e32 v59, v86
	v_fmac_f32_e32 v59, 0x3f5db3d7, v52
	v_fmac_f32_e32 v86, 0xbf5db3d7, v52
	v_add_f32_e32 v52, v87, v66
	v_add_f32_e32 v81, v52, v74
	v_add_f32_e32 v52, v66, v74
	v_fmac_f32_e32 v87, -0.5, v52
	v_sub_f32_e32 v52, v63, v71
	v_mov_b32_e32 v61, v87
	v_fmac_f32_e32 v87, 0x3f5db3d7, v52
	v_fmac_f32_e32 v61, 0xbf5db3d7, v52
	v_mul_f32_e32 v66, -0.5, v86
	v_mul_f32_e32 v71, 0xbf5db3d7, v59
	v_mul_f32_e32 v74, -0.5, v87
	v_mul_f32_e32 v63, 0x3f5db3d7, v61
	v_fmac_f32_e32 v66, 0x3f5db3d7, v87
	v_fmac_f32_e32 v71, 0.5, v61
	v_fmac_f32_e32 v74, 0xbf5db3d7, v86
	v_fmac_f32_e32 v63, 0.5, v59
	v_add_f32_e32 v60, v65, v66
	v_add_f32_e32 v59, v67, v71
	;; [unrolled: 1-line block ×3, first 2 shown]
	v_sub_f32_e32 v66, v65, v66
	v_sub_f32_e32 v65, v67, v71
	;; [unrolled: 1-line block ×3, first 2 shown]
	v_add_f32_e32 v70, v54, v163
	v_add_f32_e32 v74, v70, v69
	;; [unrolled: 1-line block ×3, first 2 shown]
	v_fma_f32 v54, -0.5, v70, v54
	v_add_f32_e32 v52, v64, v62
	v_add_f32_e32 v58, v77, v63
	v_sub_f32_e32 v62, v64, v62
	v_sub_f32_e32 v64, v77, v63
	;; [unrolled: 1-line block ×3, first 2 shown]
	v_mov_b32_e32 v77, v54
	v_fmac_f32_e32 v77, 0x3f5db3d7, v70
	v_fmac_f32_e32 v54, 0xbf5db3d7, v70
	v_add_f32_e32 v70, v55, v164
	v_add_f32_e32 v53, v80, v81
	v_sub_f32_e32 v63, v80, v81
	v_add_f32_e32 v80, v70, v72
	v_add_f32_e32 v70, v164, v72
	v_fmac_f32_e32 v55, -0.5, v70
	v_sub_f32_e32 v69, v163, v69
	v_mov_b32_e32 v81, v55
	v_fmac_f32_e32 v81, 0xbf5db3d7, v69
	v_fmac_f32_e32 v55, 0x3f5db3d7, v69
	v_add_f32_e32 v69, v75, v165
	v_add_f32_e32 v84, v69, v73
	;; [unrolled: 1-line block ×3, first 2 shown]
	v_fmac_f32_e32 v75, -0.5, v69
	v_sub_f32_e32 v69, v68, v76
	v_mov_b32_e32 v71, v75
	v_fmac_f32_e32 v71, 0x3f5db3d7, v69
	v_fmac_f32_e32 v75, 0xbf5db3d7, v69
	v_add_f32_e32 v69, v146, v68
	v_add_f32_e32 v68, v68, v76
	v_fmac_f32_e32 v146, -0.5, v68
	v_sub_f32_e32 v68, v165, v73
	v_mov_b32_e32 v73, v146
	v_fmac_f32_e32 v146, 0x3f5db3d7, v68
	v_add_f32_e32 v85, v69, v76
	v_mul_f32_e32 v145, -0.5, v146
	v_mul_f32_e32 v86, -0.5, v75
	v_add_f32_e32 v69, v80, v85
	v_fmac_f32_e32 v145, 0xbf5db3d7, v75
	v_sub_f32_e32 v75, v80, v85
	v_add_f32_e32 v80, v44, v78
	v_fmac_f32_e32 v73, 0xbf5db3d7, v68
	v_add_f32_e32 v68, v74, v84
	v_sub_f32_e32 v74, v74, v84
	v_add_f32_e32 v84, v80, v147
	v_add_f32_e32 v80, v78, v147
	v_fmac_f32_e32 v86, 0x3f5db3d7, v146
	v_fma_f32 v85, -0.5, v80, v44
	v_mul_f32_e32 v76, 0x3f5db3d7, v73
	v_add_f32_e32 v72, v54, v86
	v_mul_f32_e32 v87, 0xbf5db3d7, v71
	v_sub_f32_e32 v54, v54, v86
	v_sub_f32_e32 v44, v79, v148
	v_mov_b32_e32 v86, v85
	v_fmac_f32_e32 v76, 0.5, v71
	v_fmac_f32_e32 v87, 0.5, v73
	v_fmac_f32_e32 v86, 0x3f5db3d7, v44
	v_fmac_f32_e32 v85, 0xbf5db3d7, v44
	v_add_f32_e32 v44, v45, v79
	v_add_f32_e32 v70, v77, v76
	;; [unrolled: 1-line block ×3, first 2 shown]
	v_sub_f32_e32 v76, v77, v76
	v_sub_f32_e32 v77, v81, v87
	v_add_f32_e32 v87, v44, v148
	v_add_f32_e32 v44, v79, v148
	;; [unrolled: 1-line block ×3, first 2 shown]
	v_sub_f32_e32 v55, v55, v145
	v_fma_f32 v145, -0.5, v44, v45
	v_sub_f32_e32 v44, v78, v147
	v_mov_b32_e32 v146, v145
	v_fmac_f32_e32 v146, 0xbf5db3d7, v44
	v_fmac_f32_e32 v145, 0x3f5db3d7, v44
	v_add_f32_e32 v44, v166, v82
	v_add_f32_e32 v147, v44, v151
	;; [unrolled: 1-line block ×3, first 2 shown]
	v_fmac_f32_e32 v166, -0.5, v44
	v_sub_f32_e32 v44, v83, v152
	v_mov_b32_e32 v79, v166
	v_fmac_f32_e32 v79, 0x3f5db3d7, v44
	v_fmac_f32_e32 v166, 0xbf5db3d7, v44
	v_add_f32_e32 v44, v167, v83
	v_add_f32_e32 v148, v44, v152
	;; [unrolled: 1-line block ×3, first 2 shown]
	v_fmac_f32_e32 v167, -0.5, v44
	v_sub_f32_e32 v44, v82, v151
	v_mov_b32_e32 v81, v167
	v_fmac_f32_e32 v81, 0xbf5db3d7, v44
	v_fmac_f32_e32 v167, 0x3f5db3d7, v44
	v_mul_f32_e32 v83, 0x3f5db3d7, v81
	v_mul_f32_e32 v161, -0.5, v167
	v_fmac_f32_e32 v83, 0.5, v79
	v_mul_f32_e32 v151, -0.5, v166
	v_mul_f32_e32 v152, 0xbf5db3d7, v79
	v_fmac_f32_e32 v161, 0xbf5db3d7, v166
	v_add_f32_e32 v44, v84, v147
	v_add_f32_e32 v78, v86, v83
	v_fmac_f32_e32 v151, 0x3f5db3d7, v167
	v_add_f32_e32 v45, v87, v148
	v_fmac_f32_e32 v152, 0.5, v81
	v_add_f32_e32 v81, v145, v161
	v_sub_f32_e32 v82, v84, v147
	v_sub_f32_e32 v84, v86, v83
	;; [unrolled: 1-line block ×4, first 2 shown]
	v_add_f32_e32 v145, v46, v168
	v_add_f32_e32 v80, v85, v151
	v_sub_f32_e32 v86, v85, v151
	v_add_f32_e32 v151, v145, v150
	v_add_f32_e32 v145, v168, v150
	v_fma_f32 v46, -0.5, v145, v46
	v_add_f32_e32 v79, v146, v152
	v_sub_f32_e32 v85, v146, v152
	v_sub_f32_e32 v145, v169, v153
	v_mov_b32_e32 v152, v46
	v_fmac_f32_e32 v152, 0x3f5db3d7, v145
	v_fmac_f32_e32 v46, 0xbf5db3d7, v145
	v_add_f32_e32 v145, v47, v169
	v_add_f32_e32 v161, v145, v153
	v_add_f32_e32 v145, v169, v153
	v_fmac_f32_e32 v47, -0.5, v145
	v_sub_f32_e32 v145, v168, v150
	v_mov_b32_e32 v162, v47
	v_fmac_f32_e32 v162, 0xbf5db3d7, v145
	v_fmac_f32_e32 v47, 0x3f5db3d7, v145
	v_add_f32_e32 v145, v155, v175
	v_add_f32_e32 v153, v145, v154
	v_add_f32_e32 v145, v175, v154
	v_fmac_f32_e32 v155, -0.5, v145
	;; [unrolled: 8-line block ×3, first 2 shown]
	v_sub_f32_e32 v145, v175, v154
	v_mov_b32_e32 v150, v156
	v_fmac_f32_e32 v150, 0xbf5db3d7, v145
	v_fmac_f32_e32 v156, 0x3f5db3d7, v145
	v_mul_f32_e32 v157, -0.5, v155
	v_mul_f32_e32 v154, 0x3f5db3d7, v150
	v_fmac_f32_e32 v157, 0x3f5db3d7, v156
	v_mul_f32_e32 v156, -0.5, v156
	v_fmac_f32_e32 v154, 0.5, v148
	v_mul_f32_e32 v164, 0xbf5db3d7, v148
	v_fmac_f32_e32 v156, 0xbf5db3d7, v155
	v_add_f32_e32 v155, v40, v160
	v_add_f32_e32 v145, v151, v153
	v_add_f32_e32 v147, v152, v154
	v_add_f32_e32 v146, v161, v163
	v_fmac_f32_e32 v164, 0.5, v150
	v_sub_f32_e32 v151, v151, v153
	v_sub_f32_e32 v153, v152, v154
	;; [unrolled: 1-line block ×3, first 2 shown]
	v_add_f32_e32 v161, v155, v182
	v_add_f32_e32 v155, v160, v182
	;; [unrolled: 1-line block ×3, first 2 shown]
	v_sub_f32_e32 v154, v162, v164
	v_fma_f32 v162, -0.5, v155, v40
	v_sub_f32_e32 v40, v177, v185
	v_mov_b32_e32 v163, v162
	v_fmac_f32_e32 v163, 0x3f5db3d7, v40
	v_fmac_f32_e32 v162, 0xbf5db3d7, v40
	v_add_f32_e32 v40, v41, v177
	v_add_f32_e32 v164, v40, v185
	v_add_f32_e32 v40, v177, v185
	v_fma_f32 v165, -0.5, v40, v41
	v_sub_f32_e32 v40, v160, v182
	v_mov_b32_e32 v166, v165
	v_fmac_f32_e32 v166, 0xbf5db3d7, v40
	v_fmac_f32_e32 v165, 0x3f5db3d7, v40
	v_add_f32_e32 v40, v158, v178
	v_add_f32_e32 v160, v40, v186
	v_add_f32_e32 v40, v178, v186
	v_fmac_f32_e32 v158, -0.5, v40
	v_add_f32_e32 v150, v47, v156
	v_sub_f32_e32 v47, v47, v156
	v_sub_f32_e32 v40, v181, v189
	v_mov_b32_e32 v156, v158
	v_fmac_f32_e32 v156, 0x3f5db3d7, v40
	v_fmac_f32_e32 v158, 0xbf5db3d7, v40
	v_add_f32_e32 v40, v159, v181
	v_add_f32_e32 v167, v40, v189
	;; [unrolled: 1-line block ×3, first 2 shown]
	v_fmac_f32_e32 v159, -0.5, v40
	v_sub_f32_e32 v40, v178, v186
	v_mov_b32_e32 v168, v159
	v_fmac_f32_e32 v168, 0xbf5db3d7, v40
	v_fmac_f32_e32 v159, 0x3f5db3d7, v40
	v_mul_f32_e32 v177, 0xbf5db3d7, v156
	v_mul_f32_e32 v169, 0x3f5db3d7, v168
	v_fmac_f32_e32 v177, 0.5, v168
	v_mul_f32_e32 v168, -0.5, v159
	v_mul_f32_e32 v175, -0.5, v158
	v_fmac_f32_e32 v168, 0xbf5db3d7, v158
	v_add_f32_e32 v40, v161, v160
	v_fmac_f32_e32 v169, 0.5, v156
	v_fmac_f32_e32 v175, 0x3f5db3d7, v159
	v_add_f32_e32 v41, v164, v167
	v_add_f32_e32 v158, v165, v168
	v_sub_f32_e32 v159, v161, v160
	v_sub_f32_e32 v160, v164, v167
	;; [unrolled: 1-line block ×3, first 2 shown]
	v_add_f32_e32 v165, v42, v194
	v_add_f32_e32 v155, v163, v169
	v_sub_f32_e32 v161, v163, v169
	v_add_f32_e32 v169, v165, v184
	v_add_f32_e32 v165, v194, v184
	v_fma_f32 v42, -0.5, v165, v42
	v_add_f32_e32 v149, v46, v157
	v_sub_f32_e32 v46, v46, v157
	v_add_f32_e32 v157, v162, v175
	v_sub_f32_e32 v163, v162, v175
	v_sub_f32_e32 v165, v179, v187
	v_mov_b32_e32 v175, v42
	v_fmac_f32_e32 v175, 0x3f5db3d7, v165
	v_fmac_f32_e32 v42, 0xbf5db3d7, v165
	v_add_f32_e32 v165, v43, v179
	v_add_f32_e32 v182, v165, v187
	;; [unrolled: 1-line block ×3, first 2 shown]
	v_fmac_f32_e32 v43, -0.5, v165
	v_sub_f32_e32 v165, v194, v184
	v_mov_b32_e32 v184, v43
	v_fmac_f32_e32 v184, 0xbf5db3d7, v165
	v_fmac_f32_e32 v43, 0x3f5db3d7, v165
	v_add_f32_e32 v165, v190, v180
	v_add_f32_e32 v179, v165, v188
	;; [unrolled: 1-line block ×3, first 2 shown]
	v_fmac_f32_e32 v190, -0.5, v165
	v_sub_f32_e32 v165, v183, v191
	v_mov_b32_e32 v168, v190
	v_fmac_f32_e32 v168, 0x3f5db3d7, v165
	v_fmac_f32_e32 v190, 0xbf5db3d7, v165
	v_add_f32_e32 v165, v193, v183
	ds_write2_b64 v236, v[52:53], v[58:59] offset1:60
	ds_write2_b64 v236, v[60:61], v[62:63] offset0:120 offset1:180
	ds_write2_b64 v253, v[64:65], v[66:67] offset0:112 offset1:172
	;; [unrolled: 1-line block ×4, first 2 shown]
	v_lshlrev_b32_e32 v52, 3, v48
	v_add_f32_e32 v185, v165, v191
	v_add_f32_e32 v165, v183, v191
	v_add_u32_e32 v48, 0x1400, v52
	v_fmac_f32_e32 v193, -0.5, v165
	ds_write2_b64 v198, v[76:77], v[54:55] offset0:88 offset1:148
	ds_write2_b64 v48, v[44:45], v[78:79] offset0:80 offset1:140
	v_add_u32_e32 v44, 0x1800, v52
	v_lshlrev_b32_e32 v45, 3, v49
	v_sub_f32_e32 v165, v180, v188
	v_mov_b32_e32 v178, v193
	buffer_store_dword v52, off, s[20:23], 0 offset:316 ; 4-byte Folded Spill
	ds_write2_b64 v44, v[80:81], v[82:83] offset0:72 offset1:132
	ds_write2_b64 v44, v[84:85], v[86:87] offset0:192 offset1:252
	v_add_u32_e32 v44, 0x2000, v45
	v_fmac_f32_e32 v178, 0xbf5db3d7, v165
	ds_write2_b64 v44, v[145:146], v[147:148] offset0:56 offset1:116
	ds_write2_b64 v44, v[149:150], v[151:152] offset0:176 offset1:236
	buffer_store_dword v45, off, s[20:23], 0 offset:308 ; 4-byte Folded Spill
	v_add_u32_e32 v44, 0x2800, v45
	v_lshlrev_b32_e32 v45, 3, v50
	v_add_f32_e32 v156, v166, v177
	v_fmac_f32_e32 v193, 0x3f5db3d7, v165
	v_mul_f32_e32 v180, 0x3f5db3d7, v178
	v_mul_f32_e32 v186, 0xbf5db3d7, v168
	ds_write2_b64 v44, v[153:154], v[46:47] offset0:40 offset1:100
	v_add_u32_e32 v44, 0x2800, v45
	v_fmac_f32_e32 v180, 0.5, v168
	v_mul_f32_e32 v183, -0.5, v190
	v_fmac_f32_e32 v186, 0.5, v178
	v_mul_f32_e32 v187, -0.5, v193
	ds_write2_b64 v44, v[40:41], v[155:156] offset0:160 offset1:220
	v_add_u32_e32 v40, 0x3000, v45
	v_lshlrev_b32_e32 v41, 3, v51
	v_sub_f32_e32 v162, v166, v177
	v_add_f32_e32 v165, v169, v179
	v_add_f32_e32 v167, v175, v180
	v_fmac_f32_e32 v183, 0x3f5db3d7, v193
	v_add_f32_e32 v166, v182, v185
	v_add_f32_e32 v168, v184, v186
	v_fmac_f32_e32 v187, 0xbf5db3d7, v190
	buffer_store_dword v45, off, s[20:23], 0 offset:320 ; 4-byte Folded Spill
	ds_write2_b64 v40, v[157:158], v[159:160] offset0:24 offset1:84
	ds_write2_b64 v40, v[161:162], v[163:164] offset0:144 offset1:204
	v_add_u32_e32 v40, 0x3800, v41
	v_add_f32_e32 v177, v42, v183
	v_add_f32_e32 v178, v43, v187
	v_sub_f32_e32 v179, v169, v179
	v_sub_f32_e32 v181, v175, v180
	v_sub_f32_e32 v42, v42, v183
	v_sub_f32_e32 v180, v182, v185
	v_sub_f32_e32 v182, v184, v186
	v_sub_f32_e32 v43, v43, v187
	ds_write2_b64 v40, v[165:166], v[167:168] offset0:8 offset1:68
	ds_write2_b64 v40, v[177:178], v[179:180] offset0:128 offset1:188
	v_add_u32_e32 v40, 0x3c00, v41
	buffer_store_dword v41, off, s[20:23], 0 offset:312 ; 4-byte Folded Spill
	ds_write2_b64 v40, v[181:182], v[42:43] offset0:120 offset1:180
	s_waitcnt lgkmcnt(0)
	; wave barrier
	s_waitcnt lgkmcnt(0)
	global_load_dwordx4 v[48:51], v[56:57], off offset:2800
	global_load_dwordx4 v[40:43], v[56:57], off offset:2816
	v_mad_u64_u32 v[86:87], s[4:5], v144, 40, s[4:5]
	global_load_dwordx4 v[52:55], v[86:87], off offset:2800
	global_load_dwordx4 v[44:47], v[86:87], off offset:2816
	global_load_dwordx2 v[162:163], v[56:57], off offset:2832
	v_add_co_u32_e32 v60, vcc, s14, v86
	v_addc_co_u32_e32 v61, vcc, 0, v87, vcc
	s_movk_i32 s4, 0x1450
	v_add_co_u32_e32 v72, vcc, s4, v86
	global_load_dwordx2 v[160:161], v[86:87], off offset:2832
	ds_read2_b64 v[78:81], v173 offset0:104 offset1:164
	ds_read2_b64 v[82:85], v199 offset0:80 offset1:140
	ds_read2_b64 v[144:147], v176 offset0:56 offset1:116
	ds_read2_b64 v[148:151], v171 offset0:160 offset1:220
	v_addc_co_u32_e32 v73, vcc, 0, v87, vcc
	s_movk_i32 s4, 0x1db0
	v_add_co_u32_e32 v74, vcc, s4, v86
	v_addc_co_u32_e32 v75, vcc, 0, v87, vcc
	global_load_dwordx4 v[56:59], v[60:61], off offset:1104
	ds_read2_b64 v[152:155], v174 offset0:8 offset1:68
	ds_read2_b64 v[156:159], v197 offset0:96 offset1:156
	;; [unrolled: 1-line block ×5, first 2 shown]
	global_load_dwordx4 v[60:63], v[60:61], off offset:3504
	s_movk_i32 s4, 0x2710
	global_load_dwordx4 v[68:71], v[72:73], off offset:16
	ds_read2_b64 v[220:223], v174 offset0:128 offset1:188
	ds_read2_b64 v[166:169], v239 offset0:88 offset1:148
	;; [unrolled: 1-line block ×3, first 2 shown]
	global_load_dwordx4 v[64:67], v[74:75], off offset:16
	global_load_dwordx2 v[254:255], v[72:73], off offset:32
	global_load_dwordx2 v[186:187], v[74:75], off offset:32
	s_waitcnt vmcnt(11) lgkmcnt(10)
	v_mul_f32_e32 v72, v83, v51
	v_fma_f32 v246, v82, v50, -v72
	s_waitcnt vmcnt(10) lgkmcnt(9)
	v_mul_f32_e32 v72, v145, v41
	v_mul_f32_e32 v247, v82, v51
	v_fma_f32 v248, v144, v40, -v72
	v_add_co_u32_e32 v72, vcc, s13, v86
	s_waitcnt lgkmcnt(8)
	v_mul_f32_e32 v82, v149, v43
	v_mul_f32_e32 v76, v79, v49
	v_addc_co_u32_e32 v73, vcc, 0, v87, vcc
	v_fma_f32 v250, v148, v42, -v82
	s_waitcnt vmcnt(9)
	v_mul_f32_e32 v82, v81, v53
	v_fma_f32 v218, v78, v48, -v76
	v_add_co_u32_e32 v76, vcc, s12, v86
	v_fma_f32 v191, v80, v52, -v82
	v_mul_f32_e32 v192, v80, v53
	v_mul_f32_e32 v80, v85, v55
	v_addc_co_u32_e32 v77, vcc, 0, v87, vcc
	v_fma_f32 v210, v84, v54, -v80
	v_mul_f32_e32 v209, v84, v55
	s_waitcnt vmcnt(8)
	v_mul_f32_e32 v84, v147, v45
	v_add_co_u32_e32 v216, vcc, s4, v86
	v_fma_f32 v211, v146, v44, -v84
	s_waitcnt vmcnt(7) lgkmcnt(7)
	v_mul_f32_e32 v84, v153, v163
	v_mul_f32_e32 v219, v78, v49
	v_addc_co_u32_e32 v217, vcc, 0, v87, vcc
	v_fma_f32 v252, v152, v162, -v84
	v_mul_f32_e32 v84, v151, v47
	v_fmac_f32_e32 v219, v79, v48
	v_fmac_f32_e32 v247, v83, v50
	global_load_dwordx4 v[76:79], v[76:77], off offset:112
	v_fmac_f32_e32 v192, v81, v52
	global_load_dwordx4 v[80:83], v[216:217], off offset:16
	v_fma_f32 v215, v150, v46, -v84
	global_load_dwordx4 v[72:75], v[72:73], off offset:1808
	v_mul_f32_e32 v213, v150, v47
	v_mul_f32_e32 v150, v152, v163
	buffer_store_dword v162, off, s[20:23], 0 offset:332 ; 4-byte Folded Spill
	s_nop 0
	buffer_store_dword v163, off, s[20:23], 0 offset:336 ; 4-byte Folded Spill
	s_waitcnt vmcnt(11)
	v_mul_f32_e32 v84, v155, v161
	s_waitcnt vmcnt(8) lgkmcnt(4)
	v_mul_f32_e32 v165, v195, v69
	v_mul_f32_e32 v164, v154, v161
	v_fmac_f32_e32 v165, v196, v68
	s_waitcnt vmcnt(7)
	v_mul_f32_e32 v206, v197, v65
	v_fmac_f32_e32 v206, v198, v64
	v_mul_f32_e32 v249, v144, v41
	v_mul_f32_e32 v212, v146, v45
	v_fmac_f32_e32 v249, v145, v40
	v_fmac_f32_e32 v212, v147, v44
	s_movk_i32 s4, 0x3070
	v_mul_f32_e32 v251, v148, v43
	v_mul_f32_e32 v208, v156, v57
	v_add_co_u32_e32 v148, vcc, s4, v86
	v_fmac_f32_e32 v251, v149, v42
	v_addc_co_u32_e32 v149, vcc, 0, v87, vcc
	v_fmac_f32_e32 v209, v85, v54
	v_mul_f32_e32 v193, v177, v59
	s_waitcnt lgkmcnt(3)
	v_mul_f32_e32 v190, v201, v67
	v_fmac_f32_e32 v193, v178, v58
	v_fmac_f32_e32 v190, v202, v66
	;; [unrolled: 1-line block ×3, first 2 shown]
	v_mul_f32_e32 v183, v158, v61
	v_fmac_f32_e32 v183, v159, v60
	v_mul_f32_e32 v185, v179, v63
	v_fmac_f32_e32 v185, v180, v62
	v_add_f32_e32 v152, v219, v249
	v_fmac_f32_e32 v208, v157, v56
	s_add_u32 s4, s6, 0x4380
	s_addc_u32 s5, s7, 0
	s_waitcnt vmcnt(2) lgkmcnt(0)
	v_mul_f32_e32 v184, v242, v75
	v_fmac_f32_e32 v184, v243, v74
	v_fmac_f32_e32 v150, v153, v162
	v_fma_f32 v162, v154, v160, -v84
	v_mul_f32_e32 v84, v157, v57
	v_fma_f32 v207, v156, v56, -v84
	v_mul_f32_e32 v84, v178, v59
	;; [unrolled: 2-line block ×6, first 2 shown]
	buffer_store_dword v160, off, s[20:23], 0 offset:324 ; 4-byte Folded Spill
	s_nop 0
	buffer_store_dword v161, off, s[20:23], 0 offset:328 ; 4-byte Folded Spill
	v_fma_f32 v196, v199, v70, -v84
	v_mul_f32_e32 v84, v198, v65
	v_fma_f32 v205, v197, v64, -v84
	v_mul_f32_e32 v198, v199, v71
	v_mul_f32_e32 v84, v221, v255
	v_fmac_f32_e32 v198, v200, v70
	v_fma_f32 v200, v220, v254, -v84
	v_mul_f32_e32 v84, v202, v67
	v_fma_f32 v189, v201, v66, -v84
	v_mul_f32_e32 v84, v223, v187
	;; [unrolled: 2-line block ×3, first 2 shown]
	buffer_store_dword v186, off, s[20:23], 0 offset:340 ; 4-byte Folded Spill
	s_nop 0
	buffer_store_dword v187, off, s[20:23], 0 offset:344 ; 4-byte Folded Spill
	ds_read2_b64 v[144:147], v171 offset0:40 offset1:100
	v_mul_f32_e32 v84, v167, v73
	v_mul_f32_e32 v202, v220, v255
	v_fmac_f32_e32 v202, v221, v254
	v_add_f32_e32 v153, v248, v252
	s_waitcnt lgkmcnt(0)
	v_mul_f32_e32 v187, v144, v81
	v_fmac_f32_e32 v187, v145, v80
	v_add_f32_e32 v152, v152, v150
	v_mul_f32_e32 v161, v166, v73
	v_mul_f32_e32 v157, v168, v77
	v_fmac_f32_e32 v161, v167, v72
	v_fmac_f32_e32 v157, v169, v76
	v_mul_f32_e32 v158, v244, v79
	v_fmac_f32_e32 v158, v245, v78
	v_fmac_f32_e32 v164, v155, v160
	v_fma_f32 v160, v166, v72, -v84
	v_mul_f32_e32 v84, v243, v75
	v_fma_f32 v181, v242, v74, -v84
	v_mul_f32_e32 v84, v169, v77
	;; [unrolled: 2-line block ×4, first 2 shown]
	v_sub_f32_e32 v242, v193, v198
	v_sub_f32_e32 v244, v188, v196
	v_fmac_f32_e32 v195, v223, v186
	v_fma_f32 v186, v144, v80, -v84
	global_load_dwordx4 v[84:87], v[148:149], off offset:16
	s_waitcnt vmcnt(0)
	v_mul_f32_e32 v144, v147, v85
	v_mul_f32_e32 v178, v146, v85
	v_fma_f32 v177, v146, v84, -v144
	v_fmac_f32_e32 v178, v147, v84
	ds_read2_b64 v[144:147], v172 offset0:144 offset1:204
	global_load_dwordx2 v[222:223], v[216:217], off offset:32
	global_load_dwordx2 v[220:221], v[148:149], off offset:32
	s_waitcnt lgkmcnt(0)
	v_mul_f32_e32 v151, v145, v83
	v_fma_f32 v197, v144, v82, -v151
	v_mul_f32_e32 v199, v144, v83
	v_mul_f32_e32 v144, v147, v87
	v_mul_f32_e32 v159, v146, v87
	v_fmac_f32_e32 v199, v145, v82
	v_fma_f32 v179, v146, v86, -v144
	v_fmac_f32_e32 v159, v147, v86
	ds_read2_b64 v[144:147], v203 offset0:120 offset1:180
	v_add_f32_e32 v151, v218, v248
	v_fmac_f32_e32 v218, -0.5, v153
	v_sub_f32_e32 v153, v249, v150
	v_add_f32_e32 v150, v249, v150
	v_fmac_f32_e32 v219, -0.5, v150
	v_sub_f32_e32 v150, v248, v252
	v_mov_b32_e32 v155, v219
	v_add_f32_e32 v151, v151, v252
	v_mov_b32_e32 v154, v218
	v_fmac_f32_e32 v155, 0xbf5db3d7, v150
	v_fmac_f32_e32 v154, 0x3f5db3d7, v153
	v_mul_f32_e32 v216, 0x3f5db3d7, v155
	v_fmac_f32_e32 v216, 0.5, v154
	v_mul_f32_e32 v154, 0xbf5db3d7, v154
	v_fmac_f32_e32 v154, 0.5, v155
	v_fmac_f32_e32 v218, 0xbf5db3d7, v153
	v_fmac_f32_e32 v219, 0x3f5db3d7, v150
	v_mul_f32_e32 v150, -0.5, v219
	v_fmac_f32_e32 v150, 0xbf5db3d7, v218
	s_waitcnt vmcnt(1) lgkmcnt(0)
	v_mul_f32_e32 v148, v145, v223
	v_fma_f32 v201, v144, v222, -v148
	v_mul_f32_e32 v203, v144, v223
	s_waitcnt vmcnt(0)
	v_mul_f32_e32 v144, v147, v221
	v_mul_f32_e32 v163, v146, v221
	v_fmac_f32_e32 v203, v145, v222
	v_fma_f32 v180, v146, v220, -v144
	v_fmac_f32_e32 v163, v147, v220
	ds_read2_b64 v[144:147], v236 offset1:60
	s_waitcnt lgkmcnt(0)
	v_add_f32_e32 v148, v144, v246
	v_add_f32_e32 v149, v145, v247
	;; [unrolled: 1-line block ×6, first 2 shown]
	v_sub_f32_e32 v168, v148, v151
	v_sub_f32_e32 v169, v149, v152
	v_add_f32_e32 v149, v247, v251
	v_add_f32_e32 v151, v246, v250
	v_fma_f32 v151, -0.5, v151, v144
	v_fma_f32 v149, -0.5, v149, v145
	v_sub_f32_e32 v148, v247, v251
	v_sub_f32_e32 v152, v246, v250
	v_mov_b32_e32 v155, v151
	v_mov_b32_e32 v217, v149
	v_fmac_f32_e32 v155, 0x3f5db3d7, v148
	v_fmac_f32_e32 v217, 0xbf5db3d7, v152
	v_fmac_f32_e32 v151, 0xbf5db3d7, v148
	v_mul_f32_e32 v148, -0.5, v218
	v_add_f32_e32 v144, v155, v216
	v_add_f32_e32 v145, v217, v154
	v_fmac_f32_e32 v149, 0x3f5db3d7, v152
	v_fmac_f32_e32 v148, 0x3f5db3d7, v219
	v_add_f32_e32 v152, v151, v148
	v_add_f32_e32 v153, v149, v150
	v_sub_f32_e32 v218, v151, v148
	v_sub_f32_e32 v219, v149, v150
	ds_read2_b64 v[148:151], v236 offset0:120 offset1:180
	ds_write_b64 v236, v[144:145] offset:2880
	ds_write_b64 v236, v[152:153] offset:5760
	v_add_f32_e32 v144, v146, v210
	v_sub_f32_e32 v216, v155, v216
	v_sub_f32_e32 v217, v217, v154
	ds_read2_b64 v[152:155], v253 offset0:112 offset1:172
	ds_write_b64 v236, v[168:169] offset:8640
	ds_write_b64 v236, v[216:217] offset:11520
	;; [unrolled: 1-line block ×3, first 2 shown]
	v_add_f32_e32 v168, v144, v215
	v_add_f32_e32 v144, v147, v209
	;; [unrolled: 1-line block ×9, first 2 shown]
	ds_write2_b64 v236, v[166:167], v[144:145] offset1:60
	v_sub_f32_e32 v144, v168, v216
	v_sub_f32_e32 v145, v169, v217
	ds_write_b64 v236, v[144:145] offset:9120
	v_add_f32_e32 v145, v211, v162
	v_fmac_f32_e32 v191, -0.5, v145
	v_add_f32_e32 v145, v212, v164
	v_fmac_f32_e32 v192, -0.5, v145
	v_sub_f32_e32 v167, v212, v164
	v_sub_f32_e32 v162, v211, v162
	v_mov_b32_e32 v164, v192
	v_mov_b32_e32 v145, v191
	v_fmac_f32_e32 v164, 0xbf5db3d7, v162
	v_add_f32_e32 v144, v209, v213
	v_sub_f32_e32 v168, v209, v213
	v_fmac_f32_e32 v145, 0x3f5db3d7, v167
	v_mul_f32_e32 v209, 0x3f5db3d7, v164
	v_fmac_f32_e32 v147, -0.5, v144
	v_add_f32_e32 v144, v210, v215
	v_sub_f32_e32 v166, v210, v215
	v_fmac_f32_e32 v209, 0.5, v145
	v_mul_f32_e32 v210, 0xbf5db3d7, v145
	v_add_f32_e32 v145, v214, v200
	v_add_f32_e32 v211, v207, v214
	v_fmac_f32_e32 v207, -0.5, v145
	v_add_f32_e32 v145, v165, v202
	v_add_f32_e32 v212, v208, v165
	v_fmac_f32_e32 v208, -0.5, v145
	v_fma_f32 v146, -0.5, v144, v146
	v_add_f32_e32 v144, v188, v196
	v_fmac_f32_e32 v210, 0.5, v164
	v_sub_f32_e32 v169, v165, v202
	v_sub_f32_e32 v213, v214, v200
	v_mov_b32_e32 v145, v207
	v_mov_b32_e32 v164, v208
	s_waitcnt lgkmcnt(8)
	v_fma_f32 v216, -0.5, v144, v148
	v_add_f32_e32 v144, v193, v198
	v_fmac_f32_e32 v145, 0x3f5db3d7, v169
	v_fmac_f32_e32 v164, 0xbf5db3d7, v213
	v_fma_f32 v217, -0.5, v144, v149
	v_fmac_f32_e32 v192, 0x3f5db3d7, v162
	v_mul_f32_e32 v214, 0x3f5db3d7, v164
	v_mul_f32_e32 v215, 0xbf5db3d7, v145
	v_mov_b32_e32 v218, v146
	v_mov_b32_e32 v219, v147
	;; [unrolled: 1-line block ×4, first 2 shown]
	v_fmac_f32_e32 v191, 0xbf5db3d7, v167
	v_mul_f32_e32 v162, -0.5, v192
	v_fmac_f32_e32 v207, 0xbf5db3d7, v169
	v_fmac_f32_e32 v208, 0x3f5db3d7, v213
	v_fmac_f32_e32 v214, 0.5, v145
	v_fmac_f32_e32 v215, 0.5, v164
	v_fmac_f32_e32 v218, 0x3f5db3d7, v168
	v_fmac_f32_e32 v219, 0xbf5db3d7, v166
	;; [unrolled: 1-line block ×6, first 2 shown]
	v_mul_f32_e32 v166, -0.5, v191
	v_fmac_f32_e32 v146, 0xbf5db3d7, v168
	v_mul_f32_e32 v168, -0.5, v207
	v_mul_f32_e32 v191, -0.5, v208
	v_add_f32_e32 v144, v218, v209
	v_add_f32_e32 v145, v219, v210
	;; [unrolled: 1-line block ×4, first 2 shown]
	v_fmac_f32_e32 v166, 0x3f5db3d7, v192
	v_fmac_f32_e32 v216, 0xbf5db3d7, v242
	;; [unrolled: 1-line block ×5, first 2 shown]
	ds_write2_b64 v173, v[144:145], v[164:165] offset0:164 offset1:224
	v_add_f32_e32 v145, v147, v162
	v_add_f32_e32 v144, v146, v166
	;; [unrolled: 1-line block ×4, first 2 shown]
	ds_write2_b64 v170, v[144:145], v[164:165] offset0:12 offset1:72
	v_sub_f32_e32 v167, v147, v162
	v_add_f32_e32 v145, v185, v190
	v_add_f32_e32 v147, v205, v194
	;; [unrolled: 1-line block ×4, first 2 shown]
	v_fmac_f32_e32 v151, -0.5, v145
	v_add_f32_e32 v145, v182, v205
	v_fmac_f32_e32 v182, -0.5, v147
	v_add_f32_e32 v147, v183, v206
	v_fmac_f32_e32 v183, -0.5, v162
	v_sub_f32_e32 v247, v205, v194
	v_sub_f32_e32 v244, v206, v195
	v_mov_b32_e32 v248, v183
	v_fmac_f32_e32 v183, 0x3f5db3d7, v247
	v_sub_f32_e32 v213, v204, v189
	v_mov_b32_e32 v246, v182
	v_fmac_f32_e32 v182, 0xbf5db3d7, v244
	v_mul_f32_e32 v164, -0.5, v183
	v_mov_b32_e32 v242, v151
	v_fmac_f32_e32 v151, 0x3f5db3d7, v213
	v_fmac_f32_e32 v164, 0xbf5db3d7, v182
	v_add_f32_e32 v148, v148, v188
	v_add_f32_e32 v149, v149, v193
	;; [unrolled: 1-line block ×4, first 2 shown]
	v_sub_f32_e32 v192, v151, v164
	v_sub_f32_e32 v166, v146, v166
	v_add_f32_e32 v146, v148, v196
	v_add_f32_e32 v148, v149, v198
	;; [unrolled: 1-line block ×4, first 2 shown]
	v_fma_f32 v162, -0.5, v162, v150
	v_add_f32_e32 v206, v146, v149
	v_add_f32_e32 v207, v148, v151
	v_sub_f32_e32 v164, v146, v149
	v_sub_f32_e32 v165, v148, v151
	v_mul_f32_e32 v146, -0.5, v182
	v_sub_f32_e32 v148, v185, v190
	v_add_f32_e32 v150, v150, v204
	v_fmac_f32_e32 v146, 0x3f5db3d7, v183
	v_mov_b32_e32 v149, v162
	v_fmac_f32_e32 v162, 0xbf5db3d7, v148
	v_add_f32_e32 v144, v144, v190
	v_add_f32_e32 v147, v147, v195
	v_fmac_f32_e32 v248, 0xbf5db3d7, v247
	v_sub_f32_e32 v205, v219, v210
	v_sub_f32_e32 v210, v216, v168
	v_sub_f32_e32 v211, v217, v191
	v_add_f32_e32 v168, v162, v146
	v_sub_f32_e32 v191, v162, v146
	v_add_f32_e32 v146, v150, v189
	v_add_f32_e32 v183, v144, v147
	v_sub_f32_e32 v189, v144, v147
	v_fmac_f32_e32 v246, 0x3f5db3d7, v244
	v_mul_f32_e32 v144, 0x3f5db3d7, v248
	v_fmac_f32_e32 v149, 0x3f5db3d7, v148
	v_fmac_f32_e32 v144, 0.5, v246
	v_add_f32_e32 v145, v145, v194
	v_add_f32_e32 v193, v149, v144
	v_sub_f32_e32 v195, v149, v144
	v_add_f32_e32 v149, v187, v203
	v_add_f32_e32 v182, v146, v145
	v_sub_f32_e32 v188, v146, v145
	v_mul_f32_e32 v145, 0xbf5db3d7, v246
	v_add_f32_e32 v147, v161, v187
	v_add_f32_e32 v148, v186, v201
	v_fmac_f32_e32 v161, -0.5, v149
	v_fmac_f32_e32 v242, 0xbf5db3d7, v213
	v_fmac_f32_e32 v145, 0.5, v248
	s_waitcnt lgkmcnt(7)
	v_add_f32_e32 v144, v152, v181
	v_add_f32_e32 v146, v160, v186
	v_fmac_f32_e32 v160, -0.5, v148
	v_sub_f32_e32 v149, v186, v201
	v_mov_b32_e32 v151, v161
	v_add_f32_e32 v194, v242, v145
	v_sub_f32_e32 v196, v242, v145
	v_add_f32_e32 v144, v144, v197
	v_add_f32_e32 v145, v153, v184
	;; [unrolled: 1-line block ×3, first 2 shown]
	v_sub_f32_e32 v148, v187, v203
	v_mov_b32_e32 v150, v160
	v_fmac_f32_e32 v151, 0xbf5db3d7, v149
	v_sub_f32_e32 v208, v243, v214
	v_add_f32_e32 v145, v145, v199
	v_add_f32_e32 v147, v147, v203
	;; [unrolled: 1-line block ×3, first 2 shown]
	v_sub_f32_e32 v214, v144, v146
	v_add_f32_e32 v146, v181, v197
	v_fmac_f32_e32 v150, 0x3f5db3d7, v148
	v_mul_f32_e32 v162, 0x3f5db3d7, v151
	v_fmac_f32_e32 v161, 0x3f5db3d7, v149
	v_add_f32_e32 v149, v177, v180
	v_sub_f32_e32 v204, v218, v209
	v_sub_f32_e32 v209, v245, v215
	v_add_f32_e32 v213, v145, v147
	v_sub_f32_e32 v215, v145, v147
	v_add_f32_e32 v145, v184, v199
	v_fmac_f32_e32 v162, 0.5, v150
	v_mul_f32_e32 v150, 0xbf5db3d7, v150
	v_fma_f32 v146, -0.5, v146, v152
	v_fmac_f32_e32 v160, 0xbf5db3d7, v148
	v_add_f32_e32 v148, v156, v177
	v_fmac_f32_e32 v156, -0.5, v149
	v_sub_f32_e32 v144, v184, v199
	v_fmac_f32_e32 v150, 0.5, v151
	v_mov_b32_e32 v151, v146
	v_fma_f32 v145, -0.5, v145, v153
	v_sub_f32_e32 v149, v178, v163
	v_mov_b32_e32 v153, v156
	v_fmac_f32_e32 v151, 0x3f5db3d7, v144
	v_fmac_f32_e32 v153, 0x3f5db3d7, v149
	;; [unrolled: 1-line block ×3, first 2 shown]
	v_add_f32_e32 v149, v178, v163
	v_sub_f32_e32 v147, v181, v197
	v_mov_b32_e32 v152, v145
	v_add_f32_e32 v184, v151, v162
	v_sub_f32_e32 v186, v151, v162
	v_fmac_f32_e32 v146, 0xbf5db3d7, v144
	v_mul_f32_e32 v144, -0.5, v160
	v_add_f32_e32 v151, v157, v178
	v_fmac_f32_e32 v157, -0.5, v149
	v_fmac_f32_e32 v152, 0xbf5db3d7, v147
	v_fmac_f32_e32 v145, 0x3f5db3d7, v147
	;; [unrolled: 1-line block ×3, first 2 shown]
	v_mul_f32_e32 v147, -0.5, v161
	v_sub_f32_e32 v149, v177, v180
	v_mov_b32_e32 v162, v157
	v_fmac_f32_e32 v147, 0xbf5db3d7, v160
	v_add_f32_e32 v160, v146, v144
	v_sub_f32_e32 v197, v146, v144
	v_add_f32_e32 v144, v158, v159
	v_add_f32_e32 v146, v175, v179
	v_fmac_f32_e32 v162, 0xbf5db3d7, v149
	v_fmac_f32_e32 v157, 0x3f5db3d7, v149
	v_add_f32_e32 v161, v145, v147
	v_sub_f32_e32 v198, v145, v147
	v_add_f32_e32 v145, v155, v158
	v_fmac_f32_e32 v155, -0.5, v144
	v_add_f32_e32 v144, v154, v175
	v_fma_f32 v154, -0.5, v146, v154
	v_mul_f32_e32 v146, -0.5, v157
	v_mul_f32_e32 v177, 0x3f5db3d7, v162
	v_add_f32_e32 v185, v152, v150
	v_sub_f32_e32 v187, v152, v150
	v_sub_f32_e32 v147, v175, v179
	v_mov_b32_e32 v175, v155
	v_fmac_f32_e32 v146, 0xbf5db3d7, v156
	v_sub_f32_e32 v158, v158, v159
	v_mov_b32_e32 v152, v154
	v_fmac_f32_e32 v177, 0.5, v153
	v_mul_f32_e32 v156, -0.5, v156
	v_mul_f32_e32 v153, 0xbf5db3d7, v153
	v_add_f32_e32 v144, v144, v179
	v_add_f32_e32 v148, v148, v180
	v_fmac_f32_e32 v155, 0x3f5db3d7, v147
	v_fmac_f32_e32 v152, 0x3f5db3d7, v158
	;; [unrolled: 1-line block ×5, first 2 shown]
	v_fmac_f32_e32 v153, 0.5, v162
	v_add_f32_e32 v149, v155, v146
	v_sub_f32_e32 v155, v155, v146
	v_sub_f32_e32 v150, v144, v148
	v_add_f32_e32 v144, v144, v148
	v_add_f32_e32 v146, v152, v177
	;; [unrolled: 1-line block ×3, first 2 shown]
	v_sub_f32_e32 v154, v154, v156
	v_add_f32_e32 v156, v145, v159
	v_add_f32_e32 v151, v151, v163
	;; [unrolled: 1-line block ×3, first 2 shown]
	ds_write_b64 v236, v[164:165] offset:9600
	v_add_u32_e32 v165, 0x2c00, v236
	v_add_u32_e32 v164, 0x2400, v236
	v_sub_f32_e32 v152, v152, v177
	v_add_f32_e32 v145, v156, v151
	v_sub_f32_e32 v151, v156, v151
	v_sub_f32_e32 v153, v175, v153
	ds_write2_b64 v165, v[204:205], v[208:209] offset0:92 offset1:152
	ds_write2_b64 v174, v[166:167], v[210:211] offset0:68 offset1:128
	;; [unrolled: 1-line block ×9, first 2 shown]
	ds_write_b64 v236, v[146:147] offset:5280
	ds_write_b64 v236, v[148:149] offset:8160
	;; [unrolled: 1-line block ×5, first 2 shown]
	s_waitcnt lgkmcnt(0)
	; wave barrier
	s_waitcnt lgkmcnt(0)
	buffer_load_dword v156, off, s[20:23], 0 ; 4-byte Folded Reload
	v_mov_b32_e32 v157, s5
	v_mov_b32_e32 v219, v253
	v_add_u32_e32 v253, 0x1400, v236
	s_waitcnt vmcnt(0)
	v_lshlrev_b32_e32 v175, 3, v156
	v_add_co_u32_e32 v156, vcc, s4, v175
	v_addc_co_u32_e32 v157, vcc, 0, v157, vcc
	v_add_co_u32_e32 v160, vcc, s14, v156
	v_addc_co_u32_e32 v161, vcc, 0, v157, vcc
	;; [unrolled: 2-line block ×3, first 2 shown]
	global_load_dwordx2 v[177:178], v175, s[4:5]
	global_load_dwordx2 v[179:180], v175, s[4:5] offset:480
	global_load_dwordx2 v[181:182], v175, s[4:5] offset:3456
	;; [unrolled: 1-line block ×3, first 2 shown]
	global_load_dwordx2 v[185:186], v[160:161], off offset:2816
	global_load_dwordx2 v[187:188], v[160:161], off offset:3296
	;; [unrolled: 1-line block ×4, first 2 shown]
	buffer_load_dword v162, off, s[20:23], 0 offset:372 ; 4-byte Folded Reload
	ds_read2_b64 v[166:169], v236 offset1:60
	global_load_dwordx2 v[197:198], v175, s[4:5] offset:1728
	s_waitcnt vmcnt(9) lgkmcnt(0)
	v_mul_f32_e32 v199, v167, v178
	v_mul_f32_e32 v200, v166, v178
	v_fma_f32 v199, v166, v177, -v199
	v_fmac_f32_e32 v200, v167, v177
	global_load_dwordx2 v[177:178], v175, s[4:5] offset:960
	ds_write_b64 v236, v[199:200]
	s_waitcnt vmcnt(2)
	global_load_dwordx2 v[193:194], v162, s[4:5]
	v_add_co_u32_e32 v162, vcc, s12, v156
	v_addc_co_u32_e32 v163, vcc, 0, v157, vcc
	global_load_dwordx2 v[195:196], v[162:163], off offset:2016
	v_mul_f32_e32 v166, v169, v180
	v_mul_f32_e32 v200, v168, v180
	v_fma_f32 v199, v168, v179, -v166
	v_fmac_f32_e32 v200, v169, v179
	ds_read2_b64 v[166:169], v173 offset0:176 offset1:236
	s_waitcnt lgkmcnt(0)
	v_mul_f32_e32 v179, v167, v182
	v_fma_f32 v201, v166, v181, -v179
	v_mul_f32_e32 v202, v166, v182
	v_mul_f32_e32 v166, v169, v184
	v_mul_f32_e32 v182, v168, v184
	v_fmac_f32_e32 v202, v167, v181
	v_fma_f32 v181, v168, v183, -v166
	v_fmac_f32_e32 v182, v169, v183
	ds_read2_b64 v[166:169], v170 offset0:96 offset1:156
	s_waitcnt lgkmcnt(0)
	v_mul_f32_e32 v179, v167, v186
	v_fma_f32 v203, v166, v185, -v179
	v_mul_f32_e32 v204, v166, v186
	v_mul_f32_e32 v166, v169, v188
	v_mul_f32_e32 v206, v168, v188
	v_fmac_f32_e32 v204, v167, v185
	;; [unrolled: 10-line block ×3, first 2 shown]
	v_fma_f32 v189, v168, v191, -v166
	v_fmac_f32_e32 v190, v169, v191
	ds_read2_b64 v[166:169], v172 offset0:192 offset1:252
	s_waitcnt vmcnt(1) lgkmcnt(0)
	v_mul_f32_e32 v179, v167, v194
	v_fma_f32 v191, v166, v193, -v179
	v_mul_f32_e32 v192, v166, v194
	v_fmac_f32_e32 v192, v167, v193
	s_waitcnt vmcnt(0)
	v_mul_f32_e32 v166, v169, v196
	v_mul_f32_e32 v194, v168, v196
	v_fma_f32 v193, v168, v195, -v166
	v_fmac_f32_e32 v194, v169, v195
	ds_read2_b64 v[166:169], v236 offset0:120 offset1:216
	s_waitcnt lgkmcnt(0)
	v_mul_f32_e32 v179, v169, v198
	v_fma_f32 v179, v168, v197, -v179
	v_mul_f32_e32 v180, v168, v198
	v_mul_f32_e32 v168, v167, v178
	v_mul_f32_e32 v196, v166, v178
	v_fma_f32 v195, v166, v177, -v168
	v_fmac_f32_e32 v196, v167, v177
	global_load_dwordx2 v[177:178], v175, s[4:5] offset:2208
	v_fmac_f32_e32 v180, v169, v197
	ds_read2_b64 v[166:169], v173 offset0:20 offset1:80
	s_waitcnt vmcnt(0) lgkmcnt(0)
	v_mul_f32_e32 v183, v167, v178
	v_mul_f32_e32 v184, v166, v178
	v_fma_f32 v183, v166, v177, -v183
	v_fmac_f32_e32 v184, v167, v177
	global_load_dwordx2 v[166:167], v175, s[4:5] offset:2688
	global_load_dwordx2 v[177:178], v[160:161], off offset:1088
	ds_write2_b64 v219, v[179:180], v[183:184] offset0:88 offset1:148
	s_waitcnt vmcnt(1)
	v_mul_f32_e32 v175, v169, v167
	v_mul_f32_e32 v198, v168, v167
	v_fma_f32 v197, v168, v166, -v175
	v_fmac_f32_e32 v198, v169, v166
	ds_read2_b64 v[166:169], v239 offset0:40 offset1:136
	s_waitcnt vmcnt(0) lgkmcnt(0)
	v_mul_f32_e32 v175, v169, v178
	v_mul_f32_e32 v186, v168, v178
	v_fma_f32 v185, v168, v177, -v175
	v_fmac_f32_e32 v186, v169, v177
	global_load_dwordx2 v[168:169], v[160:161], off offset:320
	global_load_dwordx2 v[177:178], v[160:161], off offset:1568
	s_waitcnt vmcnt(1)
	v_mul_f32_e32 v175, v167, v169
	v_mul_f32_e32 v208, v166, v169
	v_fma_f32 v207, v166, v168, -v175
	v_fmac_f32_e32 v208, v167, v168
	ds_read2_b64 v[166:169], v253 offset0:68 offset1:128
	s_waitcnt vmcnt(0) lgkmcnt(0)
	v_mul_f32_e32 v175, v167, v178
	v_fma_f32 v209, v166, v177, -v175
	v_mul_f32_e32 v210, v166, v178
	buffer_load_dword v166, off, s[20:23], 0 offset:352 ; 4-byte Folded Reload
	v_fmac_f32_e32 v210, v167, v177
	global_load_dwordx2 v[177:178], v[158:159], off offset:448
	s_waitcnt vmcnt(1)
	global_load_dwordx2 v[166:167], v166, s[4:5]
	s_waitcnt vmcnt(0)
	v_mul_f32_e32 v175, v169, v167
	v_fma_f32 v211, v168, v166, -v175
	v_mul_f32_e32 v212, v168, v167
	v_add_u32_e32 v175, 0x1c00, v236
	v_fmac_f32_e32 v212, v169, v166
	ds_read2_b64 v[166:169], v175 offset0:88 offset1:184
	s_waitcnt lgkmcnt(0)
	v_mul_f32_e32 v213, v169, v178
	v_mul_f32_e32 v214, v168, v178
	v_fma_f32 v213, v168, v177, -v213
	v_fmac_f32_e32 v214, v169, v177
	global_load_dwordx2 v[168:169], v[160:161], off offset:3776
	s_waitcnt vmcnt(0)
	v_mul_f32_e32 v177, v167, v169
	v_fma_f32 v215, v166, v168, -v177
	global_load_dwordx2 v[177:178], v[158:159], off offset:928
	v_mul_f32_e32 v216, v166, v169
	v_fmac_f32_e32 v216, v167, v168
	ds_read2_b64 v[166:169], v176 offset0:116 offset1:176
	s_waitcnt vmcnt(0) lgkmcnt(0)
	v_mul_f32_e32 v217, v167, v178
	v_mul_f32_e32 v218, v166, v178
	v_fma_f32 v217, v166, v177, -v217
	v_fmac_f32_e32 v218, v167, v177
	global_load_dwordx2 v[166:167], v[158:159], off offset:1408
	s_waitcnt vmcnt(0)
	v_mul_f32_e32 v177, v169, v167
	v_fma_f32 v242, v168, v166, -v177
	global_load_dwordx2 v[177:178], v[158:159], off offset:3904
	v_mul_f32_e32 v243, v168, v167
	v_fmac_f32_e32 v243, v169, v166
	ds_read2_b64 v[166:169], v171 offset0:136 offset1:232
	s_waitcnt vmcnt(0) lgkmcnt(0)
	v_mul_f32_e32 v179, v169, v178
	v_mul_f32_e32 v184, v168, v178
	v_fma_f32 v183, v168, v177, -v179
	v_fmac_f32_e32 v184, v169, v177
	global_load_dwordx2 v[168:169], v[162:163], off offset:288
	ds_read2_b64 v[177:180], v172 offset0:36 offset1:96
	s_waitcnt vmcnt(0) lgkmcnt(0)
	v_mul_f32_e32 v219, v178, v169
	v_mul_f32_e32 v245, v177, v169
	v_fma_f32 v244, v177, v168, -v219
	v_fmac_f32_e32 v245, v178, v168
	ds_write2_b64 v165, v[183:184], v[244:245] offset0:104 offset1:164
	v_add_u32_e32 v165, 0xc00, v236
	ds_write2_b64 v165, v[181:182], v[207:208] offset0:108 offset1:168
	ds_write2_b64 v239, v[185:186], v[209:210] offset0:136 offset1:196
	;; [unrolled: 1-line block ×3, first 2 shown]
	global_load_dwordx2 v[168:169], v[162:163], off offset:3264
	ds_read2_b64 v[181:184], v174 offset0:56 offset1:152
	v_add_u32_e32 v217, 0x3c00, v236
	s_waitcnt vmcnt(0) lgkmcnt(0)
	v_mul_f32_e32 v165, v184, v169
	v_mul_f32_e32 v178, v183, v169
	v_fma_f32 v177, v183, v168, -v165
	v_fmac_f32_e32 v178, v184, v168
	global_load_dwordx2 v[168:169], v[162:163], off offset:3744
	ds_read2_b64 v[183:186], v217 offset0:84 offset1:144
	s_waitcnt vmcnt(0) lgkmcnt(0)
	v_mul_f32_e32 v165, v184, v169
	v_mul_f32_e32 v208, v183, v169
	v_fma_f32 v207, v183, v168, -v165
	v_fmac_f32_e32 v208, v184, v168
	ds_write2_b64 v174, v[177:178], v[207:208] offset0:152 offset1:212
	ds_write2_b64 v236, v[199:200], v[195:196] offset0:60 offset1:120
	ds_write2_b64 v173, v[197:198], v[201:202] offset0:80 offset1:176
	ds_write2_b64 v170, v[211:212], v[203:204] offset1:96
	global_load_dwordx2 v[168:169], v[158:159], off offset:3136
	ds_write2_b64 v170, v[205:206], v[215:216] offset0:156 offset1:216
	global_load_dwordx2 v[177:178], v[162:163], off offset:768
	global_load_dwordx2 v[183:184], v[162:163], off offset:2496
	ds_write2_b64 v164, v[242:243], v[187:188] offset0:48 offset1:144
	v_add_co_u32_e32 v164, vcc, 0x4000, v156
	v_addc_co_u32_e32 v165, vcc, 0, v157, vcc
	global_load_dwordx2 v[164:165], v[164:165], off offset:128
	s_waitcnt vmcnt(3)
	v_mul_f32_e32 v187, v167, v169
	v_mul_f32_e32 v188, v166, v169
	v_fma_f32 v187, v166, v168, -v187
	v_fmac_f32_e32 v188, v167, v168
	s_waitcnt vmcnt(2)
	v_mul_f32_e32 v166, v180, v178
	v_mul_f32_e32 v167, v179, v178
	v_fma_f32 v166, v179, v177, -v166
	v_fmac_f32_e32 v167, v180, v177
	ds_write2_b64 v172, v[166:167], v[191:192] offset0:96 offset1:192
	s_waitcnt vmcnt(1)
	v_mul_f32_e32 v166, v182, v184
	v_mul_f32_e32 v167, v181, v184
	v_fma_f32 v166, v181, v183, -v166
	v_fmac_f32_e32 v167, v182, v183
	v_add_u32_e32 v168, 0x3400, v236
	ds_write2_b64 v168, v[193:194], v[166:167] offset0:124 offset1:184
	s_waitcnt vmcnt(0)
	v_mul_f32_e32 v166, v186, v165
	v_mul_f32_e32 v167, v185, v165
	v_fma_f32 v166, v185, v164, -v166
	v_fmac_f32_e32 v167, v186, v164
	ds_write2_b64 v171, v[189:190], v[187:188] offset0:76 offset1:136
	ds_write_b64 v236, v[166:167] offset:16512
	s_and_saveexec_b64 s[4:5], s[0:1]
	s_cbranch_execz .LBB0_9
; %bb.8:
	global_load_dwordx2 v[168:169], v[156:157], off offset:1440
	v_add_u32_e32 v179, 0x500, v236
	ds_read2_b64 v[164:167], v179 offset0:20 offset1:236
	s_waitcnt vmcnt(0) lgkmcnt(0)
	v_mul_f32_e32 v177, v165, v169
	v_mul_f32_e32 v178, v164, v169
	v_fma_f32 v177, v164, v168, -v177
	v_fmac_f32_e32 v178, v165, v168
	global_load_dwordx2 v[164:165], v[156:157], off offset:3168
	v_add_co_u32_e32 v156, vcc, 0x4000, v156
	v_addc_co_u32_e32 v157, vcc, 0, v157, vcc
	global_load_dwordx2 v[156:157], v[156:157], off offset:608
	s_waitcnt vmcnt(1)
	v_mul_f32_e32 v168, v167, v165
	v_mul_f32_e32 v169, v166, v165
	v_fma_f32 v168, v166, v164, -v168
	v_fmac_f32_e32 v169, v167, v164
	ds_write2_b64 v179, v[177:178], v[168:169] offset0:20 offset1:236
	global_load_dwordx2 v[168:169], v[160:161], off offset:800
	v_add_u32_e32 v179, 0x1200, v236
	global_load_dwordx2 v[160:161], v[160:161], off offset:2528
	ds_read2_b64 v[164:167], v179 offset0:36 offset1:252
	s_waitcnt vmcnt(1) lgkmcnt(0)
	v_mul_f32_e32 v177, v165, v169
	v_mul_f32_e32 v178, v164, v169
	v_fma_f32 v177, v164, v168, -v177
	v_fmac_f32_e32 v178, v165, v168
	s_waitcnt vmcnt(0)
	v_mul_f32_e32 v164, v167, v161
	v_mul_f32_e32 v165, v166, v161
	v_fma_f32 v164, v166, v160, -v164
	v_fmac_f32_e32 v165, v167, v160
	global_load_dwordx2 v[160:161], v[158:159], off offset:160
	ds_write2_b64 v179, v[177:178], v[164:165] offset0:36 offset1:252
	ds_read2_b64 v[164:167], v176 offset0:20 offset1:236
	s_waitcnt vmcnt(0) lgkmcnt(0)
	v_mul_f32_e32 v168, v165, v161
	v_mul_f32_e32 v169, v164, v161
	v_fma_f32 v168, v164, v160, -v168
	v_fmac_f32_e32 v169, v165, v160
	global_load_dwordx2 v[160:161], v[158:159], off offset:1888
	s_waitcnt vmcnt(0)
	v_mul_f32_e32 v164, v167, v161
	global_load_dwordx2 v[158:159], v[158:159], off offset:3616
	v_mul_f32_e32 v165, v166, v161
	v_fma_f32 v164, v166, v160, -v164
	v_fmac_f32_e32 v165, v167, v160
	ds_write2_b64 v176, v[168:169], v[164:165] offset0:20 offset1:236
	v_add_u32_e32 v168, 0x2e00, v236
	ds_read2_b64 v[164:167], v168 offset0:4 offset1:220
	s_waitcnt vmcnt(0) lgkmcnt(0)
	v_mul_f32_e32 v160, v165, v159
	v_mul_f32_e32 v161, v164, v159
	v_fma_f32 v160, v164, v158, -v160
	v_fmac_f32_e32 v161, v165, v158
	global_load_dwordx2 v[158:159], v[162:163], off offset:1248
	s_waitcnt vmcnt(0)
	v_mul_f32_e32 v164, v167, v159
	global_load_dwordx2 v[162:163], v[162:163], off offset:2976
	v_mul_f32_e32 v165, v166, v159
	v_fma_f32 v164, v166, v158, -v164
	v_fmac_f32_e32 v165, v167, v158
	v_add_u32_e32 v166, 0x3b00, v236
	ds_write2_b64 v168, v[160:161], v[164:165] offset0:4 offset1:220
	ds_read2_b64 v[158:161], v166 offset0:20 offset1:236
	s_waitcnt vmcnt(0) lgkmcnt(0)
	v_mul_f32_e32 v164, v159, v163
	v_mul_f32_e32 v165, v158, v163
	v_fma_f32 v164, v158, v162, -v164
	v_fmac_f32_e32 v165, v159, v162
	v_mul_f32_e32 v158, v161, v157
	v_mul_f32_e32 v159, v160, v157
	v_fma_f32 v158, v160, v156, -v158
	v_fmac_f32_e32 v159, v161, v156
	ds_write2_b64 v166, v[164:165], v[158:159] offset0:20 offset1:236
.LBB0_9:
	s_or_b64 exec, exec, s[4:5]
	s_waitcnt lgkmcnt(0)
	; wave barrier
	s_waitcnt lgkmcnt(0)
	ds_read2_b64 v[196:199], v236 offset1:60
	ds_read2_b64 v[156:159], v236 offset0:120 offset1:216
	ds_read2_b64 v[200:203], v173 offset0:176 offset1:236
	ds_read2_b64 v[180:183], v239 offset0:40 offset1:136
	ds_read2_b64 v[204:207], v170 offset0:96 offset1:156
	ds_read2_b64 v[184:187], v175 offset0:88 offset1:184
	ds_read2_b64 v[208:211], v171 offset0:16 offset1:76
	ds_read2_b64 v[188:191], v171 offset0:136 offset1:232
	ds_read2_b64 v[212:215], v172 offset0:192 offset1:252
	ds_read2_b64 v[192:195], v174 offset0:56 offset1:152
	ds_read2_b64 v[160:163], v173 offset0:20 offset1:80
	ds_read2_b64 v[164:167], v253 offset0:68 offset1:128
	ds_read2_b64 v[168:171], v176 offset0:116 offset1:176
	ds_read2_b64 v[172:175], v172 offset0:36 offset1:96
	ds_read2_b64 v[176:179], v217 offset0:84 offset1:144
	s_and_saveexec_b64 s[4:5], s[0:1]
	s_cbranch_execz .LBB0_11
; %bb.10:
	v_add_u32_e32 v88, 0x500, v236
	ds_read2_b64 v[144:147], v88 offset0:20 offset1:236
	v_add_u32_e32 v88, 0x1200, v236
	ds_read2_b64 v[148:151], v88 offset0:36 offset1:252
	;; [unrolled: 2-line block ×3, first 2 shown]
	v_add_u32_e32 v88, 0x2e00, v236
	v_add_u32_e32 v92, 0x3b00, v236
	ds_read2_b64 v[88:91], v88 offset0:4 offset1:220
	ds_read2_b64 v[92:95], v92 offset0:20 offset1:236
.LBB0_11:
	s_or_b64 exec, exec, s[4:5]
	s_waitcnt lgkmcnt(8)
	v_add_f32_e32 v217, v204, v208
	v_fma_f32 v217, -0.5, v217, v196
	s_waitcnt lgkmcnt(6)
	v_sub_f32_e32 v218, v201, v213
	v_mov_b32_e32 v219, v217
	v_fmac_f32_e32 v219, 0xbf737871, v218
	v_sub_f32_e32 v242, v205, v209
	v_sub_f32_e32 v243, v200, v204
	;; [unrolled: 1-line block ×3, first 2 shown]
	v_fmac_f32_e32 v217, 0x3f737871, v218
	v_fmac_f32_e32 v219, 0xbf167918, v242
	v_add_f32_e32 v243, v243, v244
	v_fmac_f32_e32 v217, 0x3f167918, v242
	v_fmac_f32_e32 v219, 0x3e9e377a, v243
	;; [unrolled: 1-line block ×3, first 2 shown]
	v_add_f32_e32 v243, v200, v212
	v_fma_f32 v249, -0.5, v243, v196
	v_mov_b32_e32 v251, v249
	v_add_f32_e32 v216, v196, v200
	v_fmac_f32_e32 v251, 0x3f737871, v242
	v_sub_f32_e32 v196, v204, v200
	v_sub_f32_e32 v243, v208, v212
	v_fmac_f32_e32 v249, 0xbf737871, v242
	v_fmac_f32_e32 v251, 0xbf167918, v218
	v_add_f32_e32 v196, v196, v243
	v_fmac_f32_e32 v249, 0x3f167918, v218
	v_fmac_f32_e32 v251, 0x3e9e377a, v196
	;; [unrolled: 1-line block ×3, first 2 shown]
	v_add_f32_e32 v196, v197, v201
	v_add_f32_e32 v196, v196, v205
	;; [unrolled: 1-line block ×6, first 2 shown]
	v_fma_f32 v239, -0.5, v196, v197
	v_add_f32_e32 v216, v216, v208
	v_sub_f32_e32 v196, v200, v212
	v_mov_b32_e32 v200, v239
	v_add_f32_e32 v216, v216, v212
	v_fmac_f32_e32 v200, 0x3f737871, v196
	v_sub_f32_e32 v204, v204, v208
	v_sub_f32_e32 v208, v201, v205
	;; [unrolled: 1-line block ×3, first 2 shown]
	v_fmac_f32_e32 v239, 0xbf737871, v196
	v_fmac_f32_e32 v200, 0x3f167918, v204
	v_add_f32_e32 v208, v208, v212
	v_fmac_f32_e32 v239, 0xbf167918, v204
	v_fmac_f32_e32 v200, 0x3e9e377a, v208
	;; [unrolled: 1-line block ×3, first 2 shown]
	v_add_f32_e32 v208, v201, v213
	v_fma_f32 v208, -0.5, v208, v197
	v_mov_b32_e32 v212, v208
	v_fmac_f32_e32 v212, 0xbf737871, v204
	v_fmac_f32_e32 v208, 0x3f737871, v204
	;; [unrolled: 1-line block ×4, first 2 shown]
	v_add_f32_e32 v196, v158, v182
	v_add_f32_e32 v196, v196, v186
	v_sub_f32_e32 v197, v205, v201
	v_sub_f32_e32 v201, v209, v213
	v_add_f32_e32 v196, v196, v190
	v_add_f32_e32 v197, v197, v201
	s_waitcnt lgkmcnt(5)
	v_add_f32_e32 v201, v196, v194
	v_add_f32_e32 v196, v186, v190
	v_fma_f32 v204, -0.5, v196, v158
	v_fmac_f32_e32 v212, 0x3e9e377a, v197
	v_fmac_f32_e32 v208, 0x3e9e377a, v197
	v_sub_f32_e32 v196, v183, v195
	v_mov_b32_e32 v197, v204
	v_fmac_f32_e32 v197, 0xbf737871, v196
	v_sub_f32_e32 v205, v187, v191
	v_sub_f32_e32 v209, v182, v186
	v_sub_f32_e32 v213, v194, v190
	v_fmac_f32_e32 v204, 0x3f737871, v196
	v_fmac_f32_e32 v197, 0xbf167918, v205
	v_add_f32_e32 v209, v209, v213
	v_fmac_f32_e32 v204, 0x3f167918, v205
	v_fmac_f32_e32 v197, 0x3e9e377a, v209
	;; [unrolled: 1-line block ×3, first 2 shown]
	v_add_f32_e32 v209, v182, v194
	v_fma_f32 v158, -0.5, v209, v158
	v_mov_b32_e32 v209, v158
	v_fmac_f32_e32 v209, 0x3f737871, v205
	v_fmac_f32_e32 v158, 0xbf737871, v205
	;; [unrolled: 1-line block ×4, first 2 shown]
	v_add_f32_e32 v196, v159, v183
	v_add_f32_e32 v196, v196, v187
	v_sub_f32_e32 v213, v186, v182
	v_sub_f32_e32 v218, v190, v194
	v_add_f32_e32 v196, v196, v191
	v_add_f32_e32 v213, v213, v218
	;; [unrolled: 1-line block ×4, first 2 shown]
	v_fmac_f32_e32 v209, 0x3e9e377a, v213
	v_fmac_f32_e32 v158, 0x3e9e377a, v213
	v_fma_f32 v213, -0.5, v196, v159
	v_sub_f32_e32 v182, v182, v194
	v_mov_b32_e32 v218, v213
	v_fmac_f32_e32 v218, 0x3f737871, v182
	v_sub_f32_e32 v186, v186, v190
	v_sub_f32_e32 v190, v183, v187
	;; [unrolled: 1-line block ×3, first 2 shown]
	v_fmac_f32_e32 v213, 0xbf737871, v182
	v_fmac_f32_e32 v218, 0x3f167918, v186
	v_add_f32_e32 v190, v190, v194
	v_fmac_f32_e32 v213, 0xbf167918, v186
	v_fmac_f32_e32 v218, 0x3e9e377a, v190
	;; [unrolled: 1-line block ×3, first 2 shown]
	v_add_f32_e32 v190, v183, v195
	v_fma_f32 v159, -0.5, v190, v159
	v_mov_b32_e32 v190, v159
	v_sub_f32_e32 v183, v187, v183
	v_sub_f32_e32 v187, v191, v195
	v_fmac_f32_e32 v159, 0x3f737871, v186
	v_add_f32_e32 v183, v183, v187
	v_fmac_f32_e32 v159, 0xbf167918, v182
	v_fmac_f32_e32 v159, 0x3e9e377a, v183
	v_fmac_f32_e32 v190, 0xbf737871, v186
	v_mul_f32_e32 v186, 0xbf737871, v159
	v_mul_f32_e32 v159, 0xbe9e377a, v159
	v_fmac_f32_e32 v190, 0x3f167918, v182
	v_mul_f32_e32 v182, 0xbf167918, v218
	v_fmac_f32_e32 v186, 0xbe9e377a, v158
	v_fmac_f32_e32 v159, 0x3f737871, v158
	v_mul_f32_e32 v158, 0xbf4f1bbd, v213
	v_fmac_f32_e32 v182, 0x3f4f1bbd, v197
	v_fmac_f32_e32 v158, 0x3f167918, v204
	v_add_f32_e32 v196, v219, v182
	v_add_f32_e32 v247, v239, v158
	v_sub_f32_e32 v250, v219, v182
	v_sub_f32_e32 v219, v239, v158
	v_add_f32_e32 v158, v198, v202
	v_fmac_f32_e32 v190, 0x3e9e377a, v183
	v_add_f32_e32 v158, v158, v206
	v_mul_f32_e32 v183, 0xbf737871, v190
	v_add_f32_e32 v158, v158, v210
	v_fmac_f32_e32 v183, 0x3e9e377a, v209
	v_add_f32_e32 v182, v158, v214
	v_add_f32_e32 v158, v206, v210
	;; [unrolled: 1-line block ×3, first 2 shown]
	v_mul_f32_e32 v187, 0xbf167918, v213
	v_mul_f32_e32 v190, 0x3e9e377a, v190
	v_sub_f32_e32 v252, v251, v183
	v_fma_f32 v183, -0.5, v158, v198
	v_add_f32_e32 v194, v216, v201
	v_add_f32_e32 v244, v249, v186
	v_fmac_f32_e32 v187, 0xbf4f1bbd, v204
	v_mul_f32_e32 v191, 0x3f167918, v197
	v_fmac_f32_e32 v190, 0x3f737871, v209
	v_sub_f32_e32 v248, v216, v201
	v_sub_f32_e32 v216, v249, v186
	;; [unrolled: 1-line block ×3, first 2 shown]
	v_mov_b32_e32 v186, v183
	v_add_f32_e32 v246, v217, v187
	v_add_f32_e32 v195, v253, v205
	v_fmac_f32_e32 v191, 0x3f4f1bbd, v218
	v_add_f32_e32 v243, v212, v190
	v_add_f32_e32 v245, v208, v159
	v_sub_f32_e32 v218, v217, v187
	v_sub_f32_e32 v249, v253, v205
	;; [unrolled: 1-line block ×4, first 2 shown]
	v_fmac_f32_e32 v186, 0xbf737871, v158
	v_sub_f32_e32 v159, v207, v211
	v_sub_f32_e32 v187, v202, v206
	;; [unrolled: 1-line block ×3, first 2 shown]
	v_fmac_f32_e32 v183, 0x3f737871, v158
	v_fmac_f32_e32 v186, 0xbf167918, v159
	v_add_f32_e32 v187, v187, v190
	v_fmac_f32_e32 v183, 0x3f167918, v159
	v_fmac_f32_e32 v186, 0x3e9e377a, v187
	;; [unrolled: 1-line block ×3, first 2 shown]
	v_add_f32_e32 v187, v202, v214
	v_fma_f32 v187, -0.5, v187, v198
	v_mov_b32_e32 v190, v187
	v_fmac_f32_e32 v190, 0x3f737871, v159
	v_fmac_f32_e32 v187, 0xbf737871, v159
	;; [unrolled: 1-line block ×4, first 2 shown]
	v_add_f32_e32 v158, v199, v203
	v_add_f32_e32 v197, v200, v191
	v_sub_f32_e32 v251, v200, v191
	v_sub_f32_e32 v191, v206, v202
	;; [unrolled: 1-line block ×3, first 2 shown]
	v_add_f32_e32 v158, v158, v207
	v_add_f32_e32 v191, v191, v198
	;; [unrolled: 1-line block ×3, first 2 shown]
	v_fmac_f32_e32 v190, 0x3e9e377a, v191
	v_fmac_f32_e32 v187, 0x3e9e377a, v191
	v_add_f32_e32 v191, v158, v215
	v_add_f32_e32 v158, v207, v211
	v_fma_f32 v198, -0.5, v158, v199
	v_sub_f32_e32 v158, v202, v214
	v_mov_b32_e32 v209, v198
	v_fmac_f32_e32 v209, 0x3f737871, v158
	v_sub_f32_e32 v159, v206, v210
	v_sub_f32_e32 v200, v203, v207
	;; [unrolled: 1-line block ×3, first 2 shown]
	v_fmac_f32_e32 v198, 0xbf737871, v158
	v_fmac_f32_e32 v209, 0x3f167918, v159
	v_add_f32_e32 v200, v200, v201
	v_fmac_f32_e32 v198, 0xbf167918, v159
	v_fmac_f32_e32 v209, 0x3e9e377a, v200
	;; [unrolled: 1-line block ×3, first 2 shown]
	v_add_f32_e32 v200, v203, v215
	v_fmac_f32_e32 v199, -0.5, v200
	v_mov_b32_e32 v213, v199
	v_fmac_f32_e32 v213, 0xbf737871, v159
	v_fmac_f32_e32 v199, 0x3f737871, v159
	;; [unrolled: 1-line block ×4, first 2 shown]
	s_waitcnt lgkmcnt(3)
	v_add_f32_e32 v158, v160, v164
	s_waitcnt lgkmcnt(2)
	v_add_f32_e32 v158, v158, v168
	;; [unrolled: 2-line block ×4, first 2 shown]
	v_add_f32_e32 v158, v168, v172
	v_sub_f32_e32 v200, v207, v203
	v_sub_f32_e32 v201, v211, v215
	v_fma_f32 v205, -0.5, v158, v160
	v_add_f32_e32 v200, v200, v201
	v_sub_f32_e32 v158, v165, v177
	v_mov_b32_e32 v201, v205
	v_fmac_f32_e32 v213, 0x3e9e377a, v200
	v_fmac_f32_e32 v199, 0x3e9e377a, v200
	;; [unrolled: 1-line block ×3, first 2 shown]
	v_sub_f32_e32 v159, v169, v173
	v_sub_f32_e32 v200, v164, v168
	;; [unrolled: 1-line block ×3, first 2 shown]
	v_fmac_f32_e32 v205, 0x3f737871, v158
	v_fmac_f32_e32 v201, 0xbf167918, v159
	v_add_f32_e32 v200, v200, v202
	v_fmac_f32_e32 v205, 0x3f167918, v159
	v_fmac_f32_e32 v201, 0x3e9e377a, v200
	;; [unrolled: 1-line block ×3, first 2 shown]
	v_add_f32_e32 v200, v164, v176
	v_fma_f32 v203, -0.5, v200, v160
	v_mov_b32_e32 v207, v203
	v_fmac_f32_e32 v207, 0x3f737871, v159
	v_fmac_f32_e32 v203, 0xbf737871, v159
	;; [unrolled: 1-line block ×4, first 2 shown]
	v_add_f32_e32 v158, v161, v165
	v_add_f32_e32 v158, v158, v169
	;; [unrolled: 1-line block ×5, first 2 shown]
	v_sub_f32_e32 v160, v168, v164
	v_sub_f32_e32 v200, v172, v176
	v_fma_f32 v208, -0.5, v158, v161
	v_add_f32_e32 v160, v160, v200
	v_sub_f32_e32 v158, v164, v176
	v_mov_b32_e32 v164, v208
	v_fmac_f32_e32 v207, 0x3e9e377a, v160
	v_fmac_f32_e32 v203, 0x3e9e377a, v160
	;; [unrolled: 1-line block ×3, first 2 shown]
	v_sub_f32_e32 v159, v168, v172
	v_sub_f32_e32 v160, v165, v169
	;; [unrolled: 1-line block ×3, first 2 shown]
	v_fmac_f32_e32 v208, 0xbf737871, v158
	v_fmac_f32_e32 v164, 0x3f167918, v159
	v_add_f32_e32 v160, v160, v168
	v_fmac_f32_e32 v208, 0xbf167918, v159
	v_fmac_f32_e32 v164, 0x3e9e377a, v160
	;; [unrolled: 1-line block ×3, first 2 shown]
	v_add_f32_e32 v160, v165, v177
	v_fma_f32 v168, -0.5, v160, v161
	v_mov_b32_e32 v172, v168
	v_fmac_f32_e32 v172, 0xbf737871, v159
	v_sub_f32_e32 v160, v169, v165
	v_sub_f32_e32 v161, v173, v177
	v_fmac_f32_e32 v172, 0x3f167918, v158
	v_add_f32_e32 v160, v160, v161
	v_fmac_f32_e32 v172, 0x3e9e377a, v160
	v_mul_f32_e32 v177, 0x3f167918, v201
	v_mul_f32_e32 v165, 0xbf167918, v164
	v_fmac_f32_e32 v177, 0x3f4f1bbd, v164
	v_mul_f32_e32 v164, 0x3e9e377a, v172
	v_mul_f32_e32 v169, 0xbf737871, v172
	v_fmac_f32_e32 v164, 0x3f737871, v207
	v_fmac_f32_e32 v168, 0x3f737871, v159
	;; [unrolled: 1-line block ×4, first 2 shown]
	v_add_f32_e32 v159, v191, v211
	v_add_f32_e32 v201, v213, v164
	v_sub_f32_e32 v207, v191, v211
	v_sub_f32_e32 v211, v213, v164
	v_add_f32_e32 v164, v156, v180
	v_mul_f32_e32 v176, 0xbf167918, v208
	v_add_f32_e32 v164, v164, v184
	v_fmac_f32_e32 v168, 0xbf167918, v158
	v_fmac_f32_e32 v176, 0xbf4f1bbd, v205
	v_add_f32_e32 v164, v164, v188
	v_fmac_f32_e32 v168, 0x3e9e377a, v160
	v_add_f32_e32 v204, v183, v176
	v_sub_f32_e32 v214, v183, v176
	v_add_f32_e32 v176, v164, v192
	v_add_f32_e32 v164, v184, v188
	v_mul_f32_e32 v173, 0xbf737871, v168
	v_add_f32_e32 v161, v209, v177
	v_mul_f32_e32 v168, 0xbe9e377a, v168
	v_sub_f32_e32 v209, v209, v177
	v_fma_f32 v177, -0.5, v164, v156
	v_add_f32_e32 v158, v182, v206
	v_fmac_f32_e32 v168, 0x3f737871, v203
	v_sub_f32_e32 v206, v182, v206
	v_sub_f32_e32 v164, v181, v193
	v_mov_b32_e32 v182, v177
	v_add_f32_e32 v160, v186, v165
	v_add_f32_e32 v200, v190, v169
	v_fmac_f32_e32 v173, 0xbe9e377a, v203
	v_add_f32_e32 v203, v199, v168
	v_mul_f32_e32 v172, 0xbf4f1bbd, v208
	v_sub_f32_e32 v208, v186, v165
	v_sub_f32_e32 v210, v190, v169
	;; [unrolled: 1-line block ×3, first 2 shown]
	v_fmac_f32_e32 v182, 0xbf737871, v164
	v_sub_f32_e32 v165, v185, v189
	v_sub_f32_e32 v168, v180, v184
	;; [unrolled: 1-line block ×3, first 2 shown]
	v_fmac_f32_e32 v177, 0x3f737871, v164
	v_fmac_f32_e32 v182, 0xbf167918, v165
	v_add_f32_e32 v168, v168, v169
	v_fmac_f32_e32 v177, 0x3f167918, v165
	v_fmac_f32_e32 v182, 0x3e9e377a, v168
	;; [unrolled: 1-line block ×3, first 2 shown]
	v_add_f32_e32 v168, v180, v192
	v_fma_f32 v156, -0.5, v168, v156
	v_mov_b32_e32 v183, v156
	v_fmac_f32_e32 v183, 0x3f737871, v165
	v_fmac_f32_e32 v156, 0xbf737871, v165
	;; [unrolled: 1-line block ×4, first 2 shown]
	v_add_f32_e32 v164, v157, v181
	v_add_f32_e32 v164, v164, v185
	;; [unrolled: 1-line block ×6, first 2 shown]
	v_sub_f32_e32 v212, v187, v173
	v_sub_f32_e32 v168, v184, v180
	;; [unrolled: 1-line block ×3, first 2 shown]
	v_fma_f32 v187, -0.5, v164, v157
	v_add_f32_e32 v168, v168, v169
	v_sub_f32_e32 v164, v180, v192
	v_mov_b32_e32 v190, v187
	v_fmac_f32_e32 v183, 0x3e9e377a, v168
	v_fmac_f32_e32 v156, 0x3e9e377a, v168
	;; [unrolled: 1-line block ×3, first 2 shown]
	v_sub_f32_e32 v165, v184, v188
	v_sub_f32_e32 v168, v181, v185
	;; [unrolled: 1-line block ×3, first 2 shown]
	v_fmac_f32_e32 v187, 0xbf737871, v164
	v_fmac_f32_e32 v190, 0x3f167918, v165
	v_add_f32_e32 v168, v168, v169
	v_fmac_f32_e32 v187, 0xbf167918, v165
	v_fmac_f32_e32 v190, 0x3e9e377a, v168
	;; [unrolled: 1-line block ×3, first 2 shown]
	v_add_f32_e32 v168, v181, v193
	v_fmac_f32_e32 v157, -0.5, v168
	v_mov_b32_e32 v184, v157
	v_fmac_f32_e32 v184, 0xbf737871, v165
	v_fmac_f32_e32 v157, 0x3f737871, v165
	;; [unrolled: 1-line block ×4, first 2 shown]
	v_add_f32_e32 v164, v162, v166
	v_add_f32_e32 v164, v164, v170
	;; [unrolled: 1-line block ×5, first 2 shown]
	v_sub_f32_e32 v168, v185, v181
	v_sub_f32_e32 v169, v189, v193
	v_fma_f32 v173, -0.5, v164, v162
	v_fmac_f32_e32 v172, 0x3f167918, v205
	v_add_f32_e32 v168, v168, v169
	v_sub_f32_e32 v164, v167, v179
	v_mov_b32_e32 v169, v173
	v_add_f32_e32 v205, v198, v172
	v_sub_f32_e32 v215, v198, v172
	v_fmac_f32_e32 v184, 0x3e9e377a, v168
	v_fmac_f32_e32 v157, 0x3e9e377a, v168
	;; [unrolled: 1-line block ×3, first 2 shown]
	v_sub_f32_e32 v165, v171, v175
	v_sub_f32_e32 v168, v166, v170
	;; [unrolled: 1-line block ×3, first 2 shown]
	v_fmac_f32_e32 v173, 0x3f737871, v164
	v_fmac_f32_e32 v169, 0xbf167918, v165
	v_add_f32_e32 v168, v168, v172
	v_fmac_f32_e32 v173, 0x3f167918, v165
	v_fmac_f32_e32 v169, 0x3e9e377a, v168
	;; [unrolled: 1-line block ×3, first 2 shown]
	v_add_f32_e32 v168, v166, v178
	v_fma_f32 v162, -0.5, v168, v162
	v_mov_b32_e32 v181, v162
	v_fmac_f32_e32 v181, 0x3f737871, v165
	v_fmac_f32_e32 v162, 0xbf737871, v165
	;; [unrolled: 1-line block ×4, first 2 shown]
	v_add_f32_e32 v164, v163, v167
	v_add_f32_e32 v164, v164, v171
	;; [unrolled: 1-line block ×5, first 2 shown]
	v_sub_f32_e32 v168, v170, v166
	v_sub_f32_e32 v172, v174, v178
	v_fma_f32 v188, -0.5, v164, v163
	v_add_f32_e32 v168, v168, v172
	v_sub_f32_e32 v164, v166, v178
	v_mov_b32_e32 v178, v188
	v_fmac_f32_e32 v181, 0x3e9e377a, v168
	v_fmac_f32_e32 v162, 0x3e9e377a, v168
	;; [unrolled: 1-line block ×3, first 2 shown]
	v_sub_f32_e32 v165, v170, v174
	v_sub_f32_e32 v166, v167, v171
	;; [unrolled: 1-line block ×3, first 2 shown]
	v_fmac_f32_e32 v188, 0xbf737871, v164
	v_fmac_f32_e32 v178, 0x3f167918, v165
	v_add_f32_e32 v166, v166, v168
	v_fmac_f32_e32 v188, 0xbf167918, v165
	v_fmac_f32_e32 v178, 0x3e9e377a, v166
	;; [unrolled: 1-line block ×3, first 2 shown]
	v_add_f32_e32 v166, v167, v179
	v_fmac_f32_e32 v163, -0.5, v166
	v_mov_b32_e32 v174, v163
	v_sub_f32_e32 v166, v171, v167
	v_sub_f32_e32 v167, v175, v179
	v_fmac_f32_e32 v163, 0x3f737871, v165
	v_add_f32_e32 v166, v166, v167
	v_fmac_f32_e32 v163, 0xbf167918, v164
	v_fmac_f32_e32 v174, 0xbf737871, v165
	;; [unrolled: 1-line block ×4, first 2 shown]
	v_mul_f32_e32 v189, 0xbf737871, v163
	v_fmac_f32_e32 v174, 0x3e9e377a, v166
	v_fmac_f32_e32 v189, 0xbe9e377a, v162
	v_add_f32_e32 v164, v176, v180
	v_mul_f32_e32 v179, 0xbf737871, v174
	v_add_f32_e32 v170, v156, v189
	v_mul_f32_e32 v193, 0x3e9e377a, v174
	v_sub_f32_e32 v174, v176, v180
	v_sub_f32_e32 v180, v156, v189
	s_waitcnt lgkmcnt(0)
	; wave barrier
	buffer_load_dword v156, off, s[20:23], 0 offset:360 ; 4-byte Folded Reload
	s_waitcnt vmcnt(0)
	ds_write_b128 v156, v[194:197]
	ds_write_b128 v156, v[242:245] offset:16
	ds_write_b128 v156, v[246:249] offset:32
	;; [unrolled: 1-line block ×4, first 2 shown]
	buffer_load_dword v156, off, s[20:23], 0 offset:364 ; 4-byte Folded Reload
	s_waitcnt vmcnt(0)
	ds_write_b128 v156, v[158:161]
	ds_write_b128 v156, v[200:203] offset:16
	ds_write_b128 v156, v[204:207] offset:32
	;; [unrolled: 1-line block ×4, first 2 shown]
	buffer_load_dword v156, off, s[20:23], 0 offset:368 ; 4-byte Folded Reload
	v_mul_f32_e32 v175, 0xbf167918, v178
	v_mul_f32_e32 v192, 0x3f167918, v169
	;; [unrolled: 1-line block ×3, first 2 shown]
	v_fmac_f32_e32 v175, 0x3f4f1bbd, v169
	v_mul_f32_e32 v191, 0xbf167918, v188
	v_fmac_f32_e32 v192, 0x3f4f1bbd, v178
	v_fmac_f32_e32 v163, 0x3f737871, v162
	v_mul_f32_e32 v162, 0xbf4f1bbd, v188
	v_add_f32_e32 v166, v182, v175
	v_fmac_f32_e32 v179, 0x3e9e377a, v181
	v_fmac_f32_e32 v191, 0xbf4f1bbd, v173
	v_add_f32_e32 v165, v186, v185
	v_add_f32_e32 v167, v190, v192
	v_fmac_f32_e32 v193, 0x3f737871, v181
	v_fmac_f32_e32 v162, 0x3f167918, v173
	v_add_f32_e32 v168, v183, v179
	v_add_f32_e32 v172, v177, v191
	;; [unrolled: 1-line block ×5, first 2 shown]
	v_sub_f32_e32 v176, v182, v175
	v_sub_f32_e32 v178, v183, v179
	;; [unrolled: 1-line block ×8, first 2 shown]
	s_waitcnt vmcnt(0)
	ds_write_b128 v156, v[164:167]
	ds_write_b128 v156, v[168:171] offset:16
	ds_write_b128 v156, v[172:175] offset:32
	;; [unrolled: 1-line block ×4, first 2 shown]
	s_and_saveexec_b64 s[4:5], s[0:1]
	s_cbranch_execz .LBB0_13
; %bb.12:
	v_sub_f32_e32 v156, v149, v153
	v_sub_f32_e32 v157, v93, v89
	v_add_f32_e32 v157, v156, v157
	v_add_f32_e32 v156, v153, v89
	v_fma_f32 v163, -0.5, v156, v145
	v_sub_f32_e32 v156, v150, v154
	v_sub_f32_e32 v158, v94, v90
	v_add_f32_e32 v161, v156, v158
	v_add_f32_e32 v156, v154, v90
	v_fma_f32 v165, -0.5, v156, v146
	;; [unrolled: 5-line block ×6, first 2 shown]
	v_add_f32_e32 v147, v147, v151
	v_add_f32_e32 v147, v147, v155
	v_sub_f32_e32 v168, v155, v91
	v_sub_f32_e32 v171, v150, v94
	v_mov_b32_e32 v172, v170
	v_add_f32_e32 v91, v147, v91
	v_sub_f32_e32 v166, v151, v95
	v_mov_b32_e32 v167, v165
	v_fmac_f32_e32 v172, 0xbf737871, v171
	v_sub_f32_e32 v173, v154, v90
	v_add_f32_e32 v151, v91, v95
	v_sub_f32_e32 v95, v148, v152
	v_sub_f32_e32 v147, v92, v88
	v_fmac_f32_e32 v167, 0x3f737871, v166
	v_fmac_f32_e32 v172, 0xbf167918, v173
	v_mov_b32_e32 v179, v178
	v_fmac_f32_e32 v165, 0xbf737871, v166
	v_add_f32_e32 v145, v145, v149
	v_add_f32_e32 v95, v95, v147
	;; [unrolled: 1-line block ×3, first 2 shown]
	v_fmac_f32_e32 v167, 0x3f167918, v168
	v_fmac_f32_e32 v172, 0x3e9e377a, v169
	;; [unrolled: 1-line block ×5, first 2 shown]
	v_add_f32_e32 v145, v145, v153
	v_fma_f32 v168, -0.5, v147, v144
	v_sub_f32_e32 v147, v152, v148
	v_sub_f32_e32 v155, v88, v92
	v_fmac_f32_e32 v167, 0x3e9e377a, v161
	v_mul_f32_e32 v174, 0xbf4f1bbd, v172
	v_fmac_f32_e32 v170, 0x3f737871, v171
	v_add_f32_e32 v145, v145, v89
	v_sub_f32_e32 v89, v153, v89
	v_mul_f32_e32 v153, 0xbf167918, v172
	v_add_f32_e32 v147, v147, v155
	v_add_f32_e32 v155, v148, v92
	v_fmac_f32_e32 v174, 0x3f167918, v167
	v_fmac_f32_e32 v170, 0x3f167918, v173
	v_add_f32_e32 v145, v145, v93
	v_sub_f32_e32 v93, v149, v93
	v_mov_b32_e32 v149, v168
	v_fmac_f32_e32 v153, 0xbf4f1bbd, v167
	v_fma_f32 v167, -0.5, v155, v144
	v_fmac_f32_e32 v170, 0x3e9e377a, v169
	v_fmac_f32_e32 v149, 0x3f737871, v93
	v_mov_b32_e32 v169, v167
	v_fmac_f32_e32 v168, 0xbf737871, v93
	v_fmac_f32_e32 v149, 0x3f167918, v89
	;; [unrolled: 1-line block ×5, first 2 shown]
	v_add_f32_e32 v89, v144, v148
	v_add_f32_e32 v89, v89, v152
	v_sub_f32_e32 v160, v152, v88
	v_add_f32_e32 v88, v89, v88
	v_add_f32_e32 v144, v88, v92
	;; [unrolled: 1-line block ×5, first 2 shown]
	v_sub_f32_e32 v159, v148, v92
	v_add_f32_e32 v148, v88, v94
	v_sub_f32_e32 v90, v144, v148
	v_add_f32_e32 v144, v144, v148
	buffer_load_dword v148, off, s[20:23], 0 offset:376 ; 4-byte Folded Reload
	v_mov_b32_e32 v182, v181
	v_fmac_f32_e32 v182, 0x3f737871, v173
	v_fmac_f32_e32 v181, 0xbf737871, v173
	;; [unrolled: 1-line block ×3, first 2 shown]
	v_mov_b32_e32 v164, v163
	v_mov_b32_e32 v176, v175
	v_fmac_f32_e32 v179, 0x3f167918, v166
	v_fmac_f32_e32 v182, 0xbf167918, v171
	;; [unrolled: 1-line block ×5, first 2 shown]
	v_mul_f32_e32 v166, 0x3f167918, v165
	v_fmac_f32_e32 v164, 0xbf737871, v159
	v_fmac_f32_e32 v176, 0x3f737871, v160
	;; [unrolled: 1-line block ×7, first 2 shown]
	v_mul_f32_e32 v170, 0xbf167918, v170
	v_fmac_f32_e32 v164, 0xbf167918, v160
	v_fmac_f32_e32 v176, 0xbf167918, v159
	v_fmac_f32_e32 v179, 0x3e9e377a, v177
	v_mul_f32_e32 v183, 0xbe9e377a, v182
	v_fmac_f32_e32 v175, 0x3f167918, v159
	v_fmac_f32_e32 v178, 0x3e9e377a, v177
	v_mul_f32_e32 v177, 0x3e9e377a, v181
	v_fmac_f32_e32 v163, 0x3e9e377a, v157
	v_fmac_f32_e32 v169, 0x3f167918, v93
	v_mul_f32_e32 v171, 0xbf737871, v182
	v_fmac_f32_e32 v167, 0xbf167918, v93
	v_mul_f32_e32 v172, 0xbf737871, v181
	v_fmac_f32_e32 v168, 0x3e9e377a, v95
	v_fmac_f32_e32 v170, 0x3f4f1bbd, v165
	;; [unrolled: 1-line block ×7, first 2 shown]
	v_sub_f32_e32 v91, v145, v151
	v_fmac_f32_e32 v149, 0x3e9e377a, v95
	v_fmac_f32_e32 v169, 0x3e9e377a, v147
	;; [unrolled: 1-line block ×5, first 2 shown]
	v_add_f32_e32 v147, v163, v166
	v_add_f32_e32 v145, v145, v151
	;; [unrolled: 1-line block ×3, first 2 shown]
	v_sub_f32_e32 v158, v164, v174
	v_sub_f32_e32 v156, v176, v183
	;; [unrolled: 1-line block ×8, first 2 shown]
	v_add_f32_e32 v89, v164, v174
	v_add_f32_e32 v95, v176, v183
	;; [unrolled: 1-line block ×6, first 2 shown]
	s_waitcnt vmcnt(0)
	v_lshlrev_b32_e32 v148, 3, v148
	ds_write_b128 v148, v[144:147]
	ds_write_b128 v148, v[92:95] offset:16
	ds_write_b128 v148, v[88:91] offset:32
	;; [unrolled: 1-line block ×4, first 2 shown]
.LBB0_13:
	s_or_b64 exec, exec, s[4:5]
	v_add_u32_e32 v144, 0x800, v236
	s_waitcnt lgkmcnt(0)
	; wave barrier
	s_waitcnt lgkmcnt(0)
	ds_read2_b64 v[88:91], v144 offset0:104 offset1:164
	s_mul_i32 s13, s9, 0xd80
	s_movk_i32 s12, 0x1000
	s_waitcnt lgkmcnt(0)
	v_mul_f32_e32 v92, v101, v89
	v_fmac_f32_e32 v92, v100, v88
	v_mul_f32_e32 v88, v101, v88
	v_add_u32_e32 v101, 0x1400, v236
	ds_read2_b64 v[145:148], v101 offset0:80 offset1:140
	v_fma_f32 v93, v100, v89, -v88
	v_mul_f32_e32 v89, v105, v91
	v_add_u32_e32 v100, 0x2000, v236
	v_fmac_f32_e32 v89, v104, v90
	s_waitcnt lgkmcnt(0)
	v_mul_f32_e32 v88, v103, v145
	v_mul_f32_e32 v157, v103, v146
	v_fma_f32 v158, v102, v146, -v88
	v_mul_f32_e32 v88, v105, v90
	v_fmac_f32_e32 v157, v102, v145
	v_fma_f32 v91, v104, v91, -v88
	ds_read2_b64 v[102:105], v100 offset0:56 offset1:116
	v_mul_f32_e32 v88, v107, v147
	v_mul_f32_e32 v95, v107, v148
	v_fma_f32 v145, v106, v148, -v88
	v_fmac_f32_e32 v95, v106, v147
	s_waitcnt lgkmcnt(0)
	v_mul_f32_e32 v159, v97, v103
	v_fmac_f32_e32 v159, v96, v102
	v_mul_f32_e32 v88, v97, v102
	v_add_u32_e32 v102, 0x2800, v236
	ds_read2_b64 v[146:149], v102 offset0:160 offset1:220
	v_fma_f32 v160, v96, v103, -v88
	v_mul_f32_e32 v97, v133, v105
	v_add_u32_e32 v107, 0xc00, v236
	v_fmac_f32_e32 v97, v132, v104
	s_waitcnt lgkmcnt(0)
	v_mul_f32_e32 v88, v99, v146
	v_mul_f32_e32 v161, v99, v147
	v_fma_f32 v162, v98, v147, -v88
	v_mul_f32_e32 v88, v133, v104
	v_fmac_f32_e32 v161, v98, v146
	v_fma_f32 v146, v132, v105, -v88
	ds_read2_b64 v[103:106], v107 offset0:96 offset1:156
	v_mul_f32_e32 v147, v135, v149
	v_mul_f32_e32 v88, v135, v148
	v_fmac_f32_e32 v147, v134, v148
	v_fma_f32 v148, v134, v149, -v88
	s_waitcnt lgkmcnt(0)
	v_mul_f32_e32 v90, v141, v103
	v_mul_f32_e32 v88, v141, v104
	v_fma_f32 v132, v140, v104, -v90
	v_add_u32_e32 v104, 0x1800, v236
	ds_read2_b64 v[149:152], v104 offset0:72 offset1:132
	v_mul_f32_e32 v133, v129, v106
	v_fmac_f32_e32 v133, v128, v105
	v_add_u32_e32 v98, 0x3000, v236
	ds_read2_b64 v[153:156], v98 offset0:24 offset1:84
	s_waitcnt lgkmcnt(1)
	v_mul_f32_e32 v90, v143, v149
	v_fma_f32 v135, v142, v150, -v90
	v_mul_f32_e32 v90, v129, v105
	v_mul_f32_e32 v134, v143, v150
	v_fma_f32 v128, v128, v106, -v90
	v_mul_f32_e32 v94, v131, v152
	v_mul_f32_e32 v90, v131, v151
	v_fmac_f32_e32 v134, v142, v149
	v_fmac_f32_e32 v94, v130, v151
	v_fma_f32 v129, v130, v152, -v90
	ds_read2_b64 v[149:152], v100 offset0:176 offset1:236
	v_fmac_f32_e32 v88, v140, v103
	s_waitcnt lgkmcnt(1)
	v_mul_f32_e32 v140, v119, v154
	v_fmac_f32_e32 v140, v118, v153
	v_add_u32_e32 v105, 0x1000, v236
	s_waitcnt lgkmcnt(0)
	v_mul_f32_e32 v90, v117, v149
	v_fma_f32 v131, v116, v150, -v90
	v_mul_f32_e32 v90, v119, v153
	v_fma_f32 v141, v118, v154, -v90
	v_mul_f32_e32 v90, v113, v151
	v_mul_f32_e32 v130, v117, v150
	v_fma_f32 v143, v112, v152, -v90
	v_mul_f32_e32 v117, v115, v156
	v_mul_f32_e32 v90, v115, v155
	;; [unrolled: 1-line block ×3, first 2 shown]
	v_fmac_f32_e32 v117, v114, v155
	v_fma_f32 v118, v114, v156, -v90
	ds_read2_b64 v[153:156], v104 offset0:192 offset1:252
	v_fmac_f32_e32 v130, v116, v149
	v_fmac_f32_e32 v142, v112, v151
	ds_read2_b64 v[149:152], v105 offset0:88 offset1:148
	v_add_u32_e32 v103, 0x3800, v236
	s_waitcnt lgkmcnt(1)
	v_mul_f32_e32 v99, v123, v153
	v_fma_f32 v116, v122, v154, -v99
	v_mul_f32_e32 v115, v123, v154
	s_waitcnt lgkmcnt(0)
	v_mul_f32_e32 v90, v121, v150
	v_mul_f32_e32 v96, v121, v149
	;; [unrolled: 1-line block ×4, first 2 shown]
	v_fmac_f32_e32 v90, v120, v149
	v_fma_f32 v96, v120, v150, -v96
	v_fmac_f32_e32 v112, v136, v151
	v_fma_f32 v113, v136, v152, -v99
	v_mul_f32_e32 v137, v139, v156
	v_mul_f32_e32 v99, v139, v155
	ds_read2_b64 v[149:152], v102 offset0:40 offset1:100
	v_fmac_f32_e32 v115, v122, v153
	v_fmac_f32_e32 v137, v138, v155
	v_fma_f32 v114, v138, v156, -v99
	ds_read2_b64 v[153:156], v98 offset0:144 offset1:204
	s_waitcnt lgkmcnt(1)
	v_mul_f32_e32 v99, v109, v149
	v_fma_f32 v120, v108, v150, -v99
	v_mul_f32_e32 v119, v109, v150
	v_mul_f32_e32 v138, v125, v152
	s_waitcnt lgkmcnt(0)
	v_mul_f32_e32 v99, v111, v153
	v_fma_f32 v122, v110, v154, -v99
	v_mul_f32_e32 v99, v125, v151
	v_fma_f32 v139, v124, v152, -v99
	v_mul_f32_e32 v109, v127, v156
	v_mul_f32_e32 v99, v127, v155
	v_fmac_f32_e32 v119, v108, v149
	v_fmac_f32_e32 v138, v124, v151
	;; [unrolled: 1-line block ×3, first 2 shown]
	v_fma_f32 v108, v126, v156, -v99
	ds_read2_b64 v[123:126], v103 offset0:8 offset1:68
	ds_read2_b64 v[149:152], v103 offset0:128 offset1:188
	v_mul_f32_e32 v121, v111, v154
	v_fmac_f32_e32 v121, v110, v153
	v_sub_f32_e32 v168, v157, v161
	s_waitcnt lgkmcnt(1)
	v_mul_f32_e32 v99, v225, v123
	v_fma_f32 v153, v224, v124, -v99
	v_mul_f32_e32 v99, v227, v125
	v_fma_f32 v164, v226, v126, -v99
	s_waitcnt lgkmcnt(0)
	v_mul_f32_e32 v99, v231, v149
	v_mul_f32_e32 v163, v227, v126
	v_fma_f32 v136, v230, v150, -v99
	v_mul_f32_e32 v99, v229, v151
	v_fmac_f32_e32 v163, v226, v125
	v_mul_f32_e32 v127, v231, v150
	v_mul_f32_e32 v125, v229, v152
	v_fma_f32 v126, v228, v152, -v99
	v_add_u32_e32 v99, 0x3c00, v236
	v_fmac_f32_e32 v127, v230, v149
	v_fmac_f32_e32 v125, v228, v151
	ds_read2_b64 v[149:152], v99 offset0:120 offset1:180
	v_mul_f32_e32 v106, v225, v124
	v_fmac_f32_e32 v106, v224, v123
	v_add_f32_e32 v156, v92, v159
	v_sub_f32_e32 v170, v160, v153
	s_waitcnt lgkmcnt(0)
	v_mul_f32_e32 v110, v233, v149
	v_mul_f32_e32 v123, v233, v150
	v_fma_f32 v124, v232, v150, -v110
	v_mul_f32_e32 v110, v235, v152
	v_mul_f32_e32 v111, v235, v151
	v_fmac_f32_e32 v123, v232, v149
	v_fmac_f32_e32 v110, v234, v151
	v_fma_f32 v111, v234, v152, -v111
	ds_read2_b64 v[149:152], v236 offset1:60
	v_sub_f32_e32 v172, v159, v106
	v_add_f32_e32 v171, v156, v106
	v_sub_f32_e32 v166, v158, v162
	v_sub_f32_e32 v181, v139, v111
	s_waitcnt lgkmcnt(0)
	v_add_f32_e32 v155, v149, v157
	v_add_f32_e32 v167, v155, v161
	;; [unrolled: 1-line block ×4, first 2 shown]
	v_fmac_f32_e32 v92, -0.5, v157
	v_add_f32_e32 v157, v93, v160
	v_add_f32_e32 v169, v157, v153
	;; [unrolled: 1-line block ×3, first 2 shown]
	v_fmac_f32_e32 v93, -0.5, v153
	v_mov_b32_e32 v153, v93
	v_add_f32_e32 v154, v150, v158
	v_mov_b32_e32 v106, v92
	v_fmac_f32_e32 v153, 0x3f5db3d7, v172
	v_add_f32_e32 v165, v154, v162
	v_add_f32_e32 v154, v158, v162
	v_fmac_f32_e32 v106, 0xbf5db3d7, v170
	v_mul_f32_e32 v173, 0xbf5db3d7, v153
	v_mul_f32_e32 v174, 0.5, v153
	v_fmac_f32_e32 v173, 0.5, v106
	v_fmac_f32_e32 v174, 0x3f5db3d7, v106
	v_fma_f32 v175, -0.5, v155, v149
	v_fma_f32 v177, -0.5, v154, v150
	v_add_u32_e32 v106, 0x400, v236
	ds_read2_b64 v[153:156], v236 offset0:120 offset1:180
	ds_read2_b64 v[157:160], v106 offset0:112 offset1:172
	s_waitcnt lgkmcnt(0)
	; wave barrier
	s_waitcnt lgkmcnt(0)
	buffer_load_dword v179, off, s[20:23], 0 offset:356 ; 4-byte Folded Reload
	buffer_load_dword v185, off, s[20:23], 0 offset:348 ; 4-byte Folded Reload
	v_mov_b32_e32 v176, v175
	v_mov_b32_e32 v178, v177
	v_fmac_f32_e32 v176, 0xbf5db3d7, v166
	v_fmac_f32_e32 v178, 0x3f5db3d7, v168
	v_add_f32_e32 v149, v167, v171
	v_add_f32_e32 v150, v165, v169
	;; [unrolled: 1-line block ×4, first 2 shown]
	v_fmac_f32_e32 v93, 0xbf5db3d7, v172
	v_fmac_f32_e32 v92, 0x3f5db3d7, v170
	;; [unrolled: 1-line block ×4, first 2 shown]
	v_sub_f32_e32 v168, v94, v117
	v_sub_f32_e32 v172, v142, v125
	;; [unrolled: 1-line block ×4, first 2 shown]
	s_waitcnt vmcnt(1)
	ds_write2_b64 v179, v[149:150], v[161:162] offset1:10
	v_mul_f32_e32 v161, 0xbf5db3d7, v93
	v_mul_f32_e32 v162, -0.5, v93
	v_fmac_f32_e32 v161, -0.5, v92
	v_fmac_f32_e32 v162, 0x3f5db3d7, v92
	v_sub_f32_e32 v149, v167, v171
	v_sub_f32_e32 v150, v165, v169
	v_add_f32_e32 v92, v175, v161
	v_add_f32_e32 v93, v177, v162
	ds_write2_b64 v179, v[92:93], v[149:150] offset0:20 offset1:30
	v_sub_f32_e32 v92, v176, v173
	v_sub_f32_e32 v93, v178, v174
	;; [unrolled: 1-line block ×4, first 2 shown]
	ds_write2_b64 v179, v[92:93], v[149:150] offset0:40 offset1:50
	v_add_f32_e32 v92, v152, v145
	v_add_f32_e32 v149, v92, v148
	v_sub_f32_e32 v150, v145, v148
	v_add_f32_e32 v92, v145, v148
	v_add_f32_e32 v145, v97, v163
	v_fmac_f32_e32 v152, -0.5, v92
	v_add_f32_e32 v92, v151, v95
	v_add_f32_e32 v93, v89, v97
	v_fmac_f32_e32 v89, -0.5, v145
	v_add_f32_e32 v145, v91, v146
	v_add_f32_e32 v148, v92, v147
	;; [unrolled: 1-line block ×3, first 2 shown]
	v_sub_f32_e32 v95, v95, v147
	v_add_f32_e32 v147, v145, v164
	v_add_f32_e32 v145, v146, v164
	v_fmac_f32_e32 v91, -0.5, v145
	v_sub_f32_e32 v97, v97, v163
	v_mov_b32_e32 v145, v91
	v_sub_f32_e32 v161, v146, v164
	v_add_f32_e32 v162, v93, v163
	v_mov_b32_e32 v93, v89
	v_fmac_f32_e32 v145, 0x3f5db3d7, v97
	v_fma_f32 v151, -0.5, v92, v151
	v_fmac_f32_e32 v93, 0xbf5db3d7, v161
	v_mul_f32_e32 v163, 0xbf5db3d7, v145
	v_mul_f32_e32 v164, 0.5, v145
	v_mov_b32_e32 v165, v151
	v_mov_b32_e32 v166, v152
	v_fmac_f32_e32 v163, 0.5, v93
	v_fmac_f32_e32 v164, 0x3f5db3d7, v93
	v_fmac_f32_e32 v165, 0xbf5db3d7, v150
	;; [unrolled: 1-line block ×3, first 2 shown]
	v_add_f32_e32 v92, v148, v162
	v_add_f32_e32 v93, v149, v147
	;; [unrolled: 1-line block ×4, first 2 shown]
	v_fmac_f32_e32 v91, 0xbf5db3d7, v97
	s_waitcnt vmcnt(0)
	ds_write2_b64 v185, v[92:93], v[145:146] offset1:10
	v_sub_f32_e32 v93, v149, v147
	v_fmac_f32_e32 v89, 0x3f5db3d7, v161
	v_mul_f32_e32 v147, 0xbf5db3d7, v91
	v_mul_f32_e32 v91, -0.5, v91
	v_fmac_f32_e32 v151, 0x3f5db3d7, v150
	v_fmac_f32_e32 v152, 0xbf5db3d7, v95
	v_fmac_f32_e32 v147, -0.5, v89
	v_fmac_f32_e32 v91, 0x3f5db3d7, v89
	v_sub_f32_e32 v92, v148, v162
	v_add_f32_e32 v145, v151, v147
	v_add_f32_e32 v146, v152, v91
	ds_write2_b64 v185, v[145:146], v[92:93] offset0:20 offset1:30
	buffer_load_dword v92, off, s[20:23], 0 offset:252 ; 4-byte Folded Reload
	buffer_load_dword v93, off, s[20:23], 0 offset:256 ; 4-byte Folded Reload
	v_add_f32_e32 v89, v129, v118
	v_sub_f32_e32 v146, v152, v91
	v_add_f32_e32 v152, v156, v129
	v_fmac_f32_e32 v156, -0.5, v89
	v_add_f32_e32 v89, v142, v125
	v_add_f32_e32 v161, v133, v142
	v_fmac_f32_e32 v133, -0.5, v89
	v_add_f32_e32 v89, v143, v126
	;; [unrolled: 3-line block ×3, first 2 shown]
	v_fma_f32 v149, -0.5, v89, v153
	v_add_f32_e32 v89, v135, v141
	v_fma_f32 v150, -0.5, v89, v154
	v_add_f32_e32 v89, v94, v117
	;; [unrolled: 2-line block ×3, first 2 shown]
	v_mov_b32_e32 v173, v128
	v_fmac_f32_e32 v128, 0xbf5db3d7, v172
	v_mov_b32_e32 v171, v133
	v_fmac_f32_e32 v133, 0x3f5db3d7, v170
	v_mul_f32_e32 v89, -0.5, v128
	v_add_f32_e32 v142, v153, v134
	v_mov_b32_e32 v169, v156
	v_fmac_f32_e32 v156, 0xbf5db3d7, v168
	v_fmac_f32_e32 v89, 0x3f5db3d7, v133
	v_add_f32_e32 v91, v114, v108
	v_add_f32_e32 v143, v154, v135
	;; [unrolled: 1-line block ×3, first 2 shown]
	v_sub_f32_e32 v89, v156, v89
	v_add_f32_e32 v156, v160, v114
	v_fmac_f32_e32 v160, -0.5, v91
	v_add_f32_e32 v91, v138, v110
	v_sub_f32_e32 v145, v151, v147
	v_add_f32_e32 v174, v112, v138
	v_fmac_f32_e32 v112, -0.5, v91
	v_add_f32_e32 v175, v113, v139
	v_add_f32_e32 v91, v139, v111
	;; [unrolled: 1-line block ×4, first 2 shown]
	v_fmac_f32_e32 v173, 0x3f5db3d7, v172
	v_fmac_f32_e32 v171, 0xbf5db3d7, v170
	v_add_f32_e32 v153, v157, v115
	v_fmac_f32_e32 v113, -0.5, v91
	v_add_f32_e32 v91, v115, v121
	v_fma_f32 v176, -0.5, v91, v157
	v_add_f32_e32 v91, v116, v122
	v_add_f32_e32 v154, v158, v116
	;; [unrolled: 1-line block ×3, first 2 shown]
	v_fma_f32 v177, -0.5, v91, v158
	v_add_f32_e32 v91, v137, v109
	v_mov_b32_e32 v184, v113
	v_fma_f32 v178, -0.5, v91, v159
	v_mov_b32_e32 v182, v112
	v_fmac_f32_e32 v184, 0x3f5db3d7, v183
	v_fmac_f32_e32 v113, 0xbf5db3d7, v183
	;; [unrolled: 1-line block ×4, first 2 shown]
	v_mul_f32_e32 v91, -0.5, v113
	v_fmac_f32_e32 v91, 0x3f5db3d7, v112
	v_add_f32_e32 v159, v159, v137
	v_sub_f32_e32 v179, v137, v109
	v_sub_f32_e32 v137, v165, v163
	;; [unrolled: 1-line block ×3, first 2 shown]
	ds_write2_b64 v185, v[137:138], v[145:146] offset0:40 offset1:50
	v_add_f32_e32 v125, v161, v125
	v_fmac_f32_e32 v169, 0x3f5db3d7, v168
	v_mov_b32_e32 v180, v160
	v_fmac_f32_e32 v160, 0xbf5db3d7, v179
	v_fmac_f32_e32 v180, 0x3f5db3d7, v179
	v_add_f32_e32 v110, v174, v110
	v_add_f32_e32 v111, v175, v111
	;; [unrolled: 1-line block ×3, first 2 shown]
	v_sub_f32_e32 v91, v160, v91
	s_waitcnt vmcnt(1)
	v_mov_b32_e32 v94, v92
	s_waitcnt vmcnt(0)
	v_mad_u64_u32 v[92:93], s[4:5], s10, v94, 0
	s_movk_i32 s10, 0x3000
	v_mad_u64_u32 v[93:94], s[4:5], s11, v94, v[93:94]
	v_add_f32_e32 v94, v142, v140
	v_add_f32_e32 v142, v88, v130
	;; [unrolled: 1-line block ×6, first 2 shown]
	v_sub_f32_e32 v148, v139, v148
	v_sub_f32_e32 v139, v134, v140
	;; [unrolled: 1-line block ×3, first 2 shown]
	v_add_f32_e32 v131, v131, v136
	v_add_f32_e32 v134, v130, v127
	v_fmac_f32_e32 v132, -0.5, v131
	v_sub_f32_e32 v127, v130, v127
	v_fmac_f32_e32 v88, -0.5, v134
	v_mov_b32_e32 v131, v132
	v_fmac_f32_e32 v132, 0xbf5db3d7, v127
	v_add_f32_e32 v142, v94, v147
	v_sub_f32_e32 v147, v94, v147
	v_sub_f32_e32 v94, v135, v141
	v_mov_b32_e32 v130, v88
	v_fmac_f32_e32 v131, 0x3f5db3d7, v127
	v_mov_b32_e32 v136, v149
	v_fmac_f32_e32 v88, 0x3f5db3d7, v140
	v_mul_f32_e32 v127, -0.5, v132
	v_fmac_f32_e32 v136, 0xbf5db3d7, v94
	v_mov_b32_e32 v141, v150
	v_fmac_f32_e32 v149, 0x3f5db3d7, v94
	v_fmac_f32_e32 v150, 0xbf5db3d7, v139
	v_mul_f32_e32 v94, 0xbf5db3d7, v132
	v_fmac_f32_e32 v127, 0x3f5db3d7, v88
	v_add_f32_e32 v132, v152, v118
	v_fmac_f32_e32 v130, 0xbf5db3d7, v140
	v_add_f32_e32 v140, v150, v127
	v_sub_f32_e32 v150, v150, v127
	v_sub_f32_e32 v127, v129, v118
	v_mov_b32_e32 v129, v167
	v_add_f32_e32 v118, v132, v126
	v_sub_f32_e32 v126, v132, v126
	v_mul_f32_e32 v132, 0xbf5db3d7, v173
	v_mul_f32_e32 v135, 0.5, v131
	v_fmac_f32_e32 v129, 0xbf5db3d7, v127
	v_fmac_f32_e32 v132, 0.5, v171
	v_fmac_f32_e32 v135, 0x3f5db3d7, v130
	v_fmac_f32_e32 v141, 0x3f5db3d7, v139
	;; [unrolled: 1-line block ×3, first 2 shown]
	v_add_f32_e32 v127, v129, v132
	v_sub_f32_e32 v132, v129, v132
	v_add_f32_e32 v129, v153, v121
	v_sub_f32_e32 v121, v115, v121
	v_add_f32_e32 v115, v119, v123
	v_mul_f32_e32 v134, 0xbf5db3d7, v131
	v_add_f32_e32 v131, v141, v135
	v_sub_f32_e32 v135, v141, v135
	v_add_f32_e32 v141, v90, v119
	v_fmac_f32_e32 v90, -0.5, v115
	v_add_f32_e32 v115, v120, v124
	v_fmac_f32_e32 v134, 0.5, v130
	v_add_f32_e32 v141, v141, v123
	v_fmac_f32_e32 v96, -0.5, v115
	v_sub_f32_e32 v123, v119, v123
	v_add_f32_e32 v130, v136, v134
	v_sub_f32_e32 v134, v136, v134
	v_add_f32_e32 v136, v154, v122
	v_add_f32_e32 v154, v151, v124
	;; [unrolled: 1-line block ×3, first 2 shown]
	v_sub_f32_e32 v153, v129, v141
	v_sub_f32_e32 v122, v116, v122
	;; [unrolled: 1-line block ×3, first 2 shown]
	v_mov_b32_e32 v116, v96
	v_fmac_f32_e32 v96, 0xbf5db3d7, v123
	v_mov_b32_e32 v115, v90
	v_fmac_f32_e32 v116, 0x3f5db3d7, v123
	v_fmac_f32_e32 v90, 0x3f5db3d7, v129
	v_mul_f32_e32 v123, 0xbf5db3d7, v96
	v_mul_f32_e32 v96, -0.5, v96
	v_fmac_f32_e32 v123, -0.5, v90
	v_fmac_f32_e32 v96, 0x3f5db3d7, v90
	v_sub_f32_e32 v90, v114, v108
	v_mov_b32_e32 v114, v178
	v_mul_f32_e32 v141, 0xbf5db3d7, v184
	v_fmac_f32_e32 v114, 0xbf5db3d7, v90
	v_fmac_f32_e32 v178, 0x3f5db3d7, v90
	v_mul_f32_e32 v90, 0xbf5db3d7, v113
	v_fmac_f32_e32 v141, 0.5, v182
	v_fmac_f32_e32 v94, -0.5, v88
	v_mul_f32_e32 v88, 0xbf5db3d7, v128
	v_add_f32_e32 v128, v155, v117
	v_fmac_f32_e32 v90, -0.5, v112
	v_add_f32_e32 v112, v114, v141
	v_sub_f32_e32 v155, v114, v141
	buffer_load_dword v114, off, s[20:23], 0 offset:276 ; 4-byte Folded Reload
	v_add_f32_e32 v139, v149, v94
	v_sub_f32_e32 v149, v149, v94
	s_waitcnt vmcnt(0)
	ds_write2_b64 v114, v[142:143], v[130:131] offset1:10
	ds_write2_b64 v114, v[139:140], v[147:148] offset0:20 offset1:30
	ds_write2_b64 v114, v[134:135], v[149:150] offset0:40 offset1:50
	buffer_load_dword v114, off, s[20:23], 0 offset:280 ; 4-byte Folded Reload
	v_fmac_f32_e32 v88, -0.5, v133
	v_mul_f32_e32 v133, 0.5, v173
	v_fmac_f32_e32 v133, 0x3f5db3d7, v171
	v_add_f32_e32 v117, v128, v125
	v_sub_f32_e32 v125, v128, v125
	v_add_f32_e32 v128, v169, v133
	v_add_f32_e32 v94, v167, v88
	v_sub_f32_e32 v88, v167, v88
	v_sub_f32_e32 v133, v169, v133
	s_waitcnt vmcnt(0)
	ds_write2_b64 v114, v[117:118], v[127:128] offset1:10
	ds_write2_b64 v114, v[94:95], v[125:126] offset0:20 offset1:30
	ds_write2_b64 v114, v[132:133], v[88:89] offset0:40 offset1:50
	buffer_load_dword v88, off, s[20:23], 0 offset:284 ; 4-byte Folded Reload
	v_add_f32_e32 v152, v136, v154
	v_sub_f32_e32 v154, v136, v154
	v_fmac_f32_e32 v115, 0xbf5db3d7, v129
	v_mul_f32_e32 v119, 0xbf5db3d7, v116
	v_mul_f32_e32 v120, 0.5, v116
	v_mov_b32_e32 v124, v176
	v_mov_b32_e32 v136, v177
	v_fmac_f32_e32 v119, 0.5, v115
	v_fmac_f32_e32 v120, 0x3f5db3d7, v115
	v_fmac_f32_e32 v124, 0xbf5db3d7, v122
	;; [unrolled: 1-line block ×3, first 2 shown]
	v_add_f32_e32 v115, v124, v119
	v_add_f32_e32 v116, v136, v120
	v_fmac_f32_e32 v176, 0x3f5db3d7, v122
	v_fmac_f32_e32 v177, 0xbf5db3d7, v121
	v_sub_f32_e32 v119, v124, v119
	v_sub_f32_e32 v120, v136, v120
	v_add_f32_e32 v121, v176, v123
	v_add_f32_e32 v122, v177, v96
	v_sub_f32_e32 v123, v176, v123
	v_sub_f32_e32 v124, v177, v96
	s_waitcnt vmcnt(0)
	ds_write2_b64 v88, v[151:152], v[115:116] offset1:10
	ds_write2_b64 v88, v[121:122], v[153:154] offset0:20 offset1:30
	ds_write2_b64 v88, v[119:120], v[123:124] offset0:40 offset1:50
	buffer_load_dword v88, off, s[20:23], 0 offset:288 ; 4-byte Folded Reload
	v_add_f32_e32 v136, v156, v108
	v_mul_f32_e32 v156, 0.5, v184
	v_add_f32_e32 v129, v159, v109
	v_fmac_f32_e32 v156, 0x3f5db3d7, v182
	v_add_f32_e32 v96, v178, v90
	v_sub_f32_e32 v90, v178, v90
	v_add_f32_e32 v108, v129, v110
	v_add_f32_e32 v109, v136, v111
	v_sub_f32_e32 v110, v129, v110
	v_sub_f32_e32 v111, v136, v111
	v_add_f32_e32 v113, v180, v156
	v_sub_f32_e32 v156, v180, v156
	s_waitcnt vmcnt(0)
	ds_write2_b64 v88, v[108:109], v[112:113] offset1:10
	ds_write2_b64 v88, v[96:97], v[110:111] offset0:20 offset1:30
	ds_write2_b64 v88, v[155:156], v[90:91] offset0:40 offset1:50
	s_waitcnt lgkmcnt(0)
	; wave barrier
	s_waitcnt lgkmcnt(0)
	ds_read2_b64 v[94:97], v236 offset1:60
	ds_read2_b64 v[108:111], v144 offset0:104 offset1:164
	ds_read2_b64 v[112:115], v101 offset0:80 offset1:140
	;; [unrolled: 1-line block ×12, first 2 shown]
	s_waitcnt lgkmcnt(11)
	v_mul_f32_e32 v153, v9, v109
	v_fmac_f32_e32 v153, v8, v108
	v_mul_f32_e32 v108, v9, v108
	v_fma_f32 v154, v8, v109, -v108
	s_waitcnt lgkmcnt(10)
	v_mul_f32_e32 v155, v11, v113
	v_mul_f32_e32 v108, v11, v112
	v_fmac_f32_e32 v155, v10, v112
	v_fma_f32 v112, v10, v113, -v108
	v_mul_f32_e32 v113, v9, v111
	v_mul_f32_e32 v9, v9, v110
	v_fmac_f32_e32 v113, v8, v110
	v_fma_f32 v156, v8, v111, -v9
	;; [unrolled: 4-line block ×3, first 2 shown]
	s_waitcnt lgkmcnt(9)
	v_mul_f32_e32 v115, v1, v117
	v_mul_f32_e32 v108, v1, v116
	v_fmac_f32_e32 v115, v0, v116
	v_fma_f32 v116, v0, v117, -v108
	s_waitcnt lgkmcnt(8)
	v_mul_f32_e32 v117, v3, v121
	v_mul_f32_e32 v108, v3, v120
	v_fmac_f32_e32 v117, v2, v120
	v_fma_f32 v120, v2, v121, -v108
	v_mul_f32_e32 v121, v1, v119
	v_mul_f32_e32 v1, v1, v118
	v_fmac_f32_e32 v121, v0, v118
	v_fma_f32 v118, v0, v119, -v1
	;; [unrolled: 4-line block ×3, first 2 shown]
	s_waitcnt lgkmcnt(7)
	v_mul_f32_e32 v123, v241, v125
	v_mul_f32_e32 v108, v241, v124
	v_fmac_f32_e32 v123, v240, v124
	v_fma_f32 v124, v240, v125, -v108
	v_mul_f32_e32 v125, v241, v127
	v_mul_f32_e32 v108, v241, v126
	v_fmac_f32_e32 v125, v240, v126
	v_fma_f32 v126, v240, v127, -v108
	s_waitcnt lgkmcnt(5)
	v_mul_f32_e32 v127, v17, v133
	v_mul_f32_e32 v17, v17, v132
	v_fmac_f32_e32 v127, v16, v132
	v_fma_f32 v132, v16, v133, -v17
	s_waitcnt lgkmcnt(4)
	v_mul_f32_e32 v133, v19, v137
	v_mul_f32_e32 v16, v19, v136
	v_fmac_f32_e32 v133, v18, v136
	v_fma_f32 v136, v18, v137, -v16
	v_mul_f32_e32 v137, v29, v135
	v_mul_f32_e32 v16, v29, v134
	v_fmac_f32_e32 v137, v28, v134
	v_fma_f32 v134, v28, v135, -v16
	;; [unrolled: 4-line block ×3, first 2 shown]
	s_waitcnt lgkmcnt(3)
	v_mul_f32_e32 v139, v5, v141
	v_mul_f32_e32 v5, v5, v140
	v_fmac_f32_e32 v139, v4, v140
	v_fma_f32 v140, v4, v141, -v5
	s_waitcnt lgkmcnt(2)
	v_mul_f32_e32 v141, v7, v146
	v_mul_f32_e32 v4, v7, v145
	ds_read2_b64 v[8:11], v105 offset0:88 offset1:148
	ds_read2_b64 v[0:3], v104 offset0:192 offset1:252
	ds_read2_b64 v[108:111], v102 offset0:40 offset1:100
	ds_read2_b64 v[16:19], v98 offset0:144 offset1:204
	ds_read2_b64 v[28:31], v99 offset0:120 offset1:180
	v_fmac_f32_e32 v141, v6, v145
	v_fma_f32 v145, v6, v146, -v4
	buffer_load_dword v5, off, s[20:23], 0 offset:260 ; 4-byte Folded Reload
	buffer_load_dword v6, off, s[20:23], 0 offset:264 ; 4-byte Folded Reload
	s_waitcnt lgkmcnt(3)
	v_mul_f32_e32 v159, v27, v1
	v_fmac_f32_e32 v159, v26, v0
	v_mul_f32_e32 v0, v27, v0
	v_fma_f32 v160, v26, v1, -v0
	s_waitcnt lgkmcnt(2)
	v_mul_f32_e32 v0, v21, v108
	v_fma_f32 v162, v20, v109, -v0
	s_waitcnt lgkmcnt(1)
	v_mul_f32_e32 v0, v23, v16
	v_fma_f32 v164, v22, v17, -v0
	v_mul_f32_e32 v169, v39, v3
	v_fmac_f32_e32 v169, v38, v2
	v_mul_f32_e32 v167, v37, v11
	v_fmac_f32_e32 v167, v36, v10
	;; [unrolled: 2-line block ×6, first 2 shown]
	s_mov_b32 s4, 0xc901e574
	s_mov_b32 s5, 0x3f3e573a
	s_movk_i32 s11, 0x2000
	s_waitcnt vmcnt(0)
	v_mul_f32_e32 v146, v6, v150
	v_mul_f32_e32 v4, v6, v149
	v_fmac_f32_e32 v146, v5, v149
	v_fma_f32 v149, v5, v150, -v4
	buffer_load_dword v5, off, s[20:23], 0 offset:268 ; 4-byte Folded Reload
	buffer_load_dword v6, off, s[20:23], 0 offset:272 ; 4-byte Folded Reload
	v_mul_f32_e32 v150, v13, v143
	v_mul_f32_e32 v4, v13, v142
	v_fmac_f32_e32 v150, v12, v142
	v_fma_f32 v142, v12, v143, -v4
	v_mul_f32_e32 v143, v15, v148
	v_mul_f32_e32 v4, v15, v147
	v_fmac_f32_e32 v143, v14, v147
	v_fma_f32 v147, v14, v148, -v4
	s_waitcnt vmcnt(0)
	v_mul_f32_e32 v148, v6, v152
	v_mul_f32_e32 v4, v6, v151
	v_fmac_f32_e32 v148, v5, v151
	v_fma_f32 v151, v5, v152, -v4
	v_mul_f32_e32 v4, v25, v8
	v_fma_f32 v158, v24, v9, -v4
	buffer_load_dword v4, off, s[20:23], 0 offset:292 ; 4-byte Folded Reload
	buffer_load_dword v5, off, s[20:23], 0 offset:296 ; 4-byte Folded Reload
	v_mul_f32_e32 v152, v25, v9
	v_fmac_f32_e32 v152, v24, v8
	s_waitcnt vmcnt(0) lgkmcnt(0)
	v_mul_f32_e32 v0, v5, v28
	v_fma_f32 v166, v4, v29, -v0
	v_mul_f32_e32 v0, v37, v10
	v_fma_f32 v168, v36, v11, -v0
	v_mul_f32_e32 v0, v39, v2
	buffer_load_dword v1, off, s[20:23], 0 offset:300 ; 4-byte Folded Reload
	buffer_load_dword v2, off, s[20:23], 0 offset:304 ; 4-byte Folded Reload
	v_fma_f32 v170, v38, v3, -v0
	v_mul_f32_e32 v0, v33, v110
	v_fma_f32 v172, v32, v111, -v0
	v_mul_f32_e32 v0, v35, v18
	;; [unrolled: 2-line block ×3, first 2 shown]
	v_fmac_f32_e32 v165, v4, v28
	s_waitcnt lgkmcnt(0)
	; wave barrier
	s_waitcnt vmcnt(0)
	v_mul_f32_e32 v0, v2, v30
	v_fma_f32 v176, v1, v31, -v0
	v_add_f32_e32 v0, v94, v155
	v_add_f32_e32 v6, v0, v117
	;; [unrolled: 1-line block ×3, first 2 shown]
	v_fma_f32 v7, -0.5, v0, v94
	v_sub_f32_e32 v0, v112, v120
	v_mov_b32_e32 v8, v7
	v_fmac_f32_e32 v8, 0xbf5db3d7, v0
	v_fmac_f32_e32 v7, 0x3f5db3d7, v0
	v_add_f32_e32 v0, v95, v112
	v_add_f32_e32 v9, v0, v120
	;; [unrolled: 1-line block ×3, first 2 shown]
	v_fma_f32 v11, -0.5, v0, v95
	v_sub_f32_e32 v0, v155, v117
	v_mov_b32_e32 v12, v11
	v_fmac_f32_e32 v12, 0x3f5db3d7, v0
	v_fmac_f32_e32 v11, 0xbf5db3d7, v0
	v_add_f32_e32 v0, v153, v115
	v_add_f32_e32 v10, v0, v123
	;; [unrolled: 1-line block ×3, first 2 shown]
	v_fmac_f32_e32 v153, -0.5, v0
	v_sub_f32_e32 v0, v116, v124
	v_mov_b32_e32 v3, v153
	v_fmac_f32_e32 v3, 0xbf5db3d7, v0
	v_fmac_f32_e32 v153, 0x3f5db3d7, v0
	v_add_f32_e32 v0, v154, v116
	v_add_f32_e32 v13, v0, v124
	;; [unrolled: 1-line block ×3, first 2 shown]
	v_fmac_f32_e32 v154, -0.5, v0
	v_sub_f32_e32 v0, v115, v123
	v_mov_b32_e32 v5, v154
	v_fmac_f32_e32 v5, 0x3f5db3d7, v0
	v_fmac_f32_e32 v154, 0xbf5db3d7, v0
	v_mul_f32_e32 v15, 0xbf5db3d7, v154
	v_mul_f32_e32 v16, 0.5, v5
	v_mul_f32_e32 v175, v2, v31
	v_mul_f32_e32 v14, 0xbf5db3d7, v5
	v_fmac_f32_e32 v15, -0.5, v153
	v_fmac_f32_e32 v16, 0x3f5db3d7, v3
	v_fmac_f32_e32 v175, v1, v30
	v_add_f32_e32 v0, v6, v10
	v_fmac_f32_e32 v14, 0.5, v3
	v_add_f32_e32 v4, v7, v15
	v_add_f32_e32 v1, v9, v13
	;; [unrolled: 1-line block ×3, first 2 shown]
	v_sub_f32_e32 v6, v6, v10
	v_sub_f32_e32 v10, v7, v15
	;; [unrolled: 1-line block ×4, first 2 shown]
	v_add_f32_e32 v12, v96, v157
	v_add_f32_e32 v18, v12, v119
	v_add_f32_e32 v12, v157, v119
	v_fma_f32 v19, -0.5, v12, v96
	v_sub_f32_e32 v12, v114, v122
	v_mov_b32_e32 v20, v19
	v_fmac_f32_e32 v20, 0xbf5db3d7, v12
	v_fmac_f32_e32 v19, 0x3f5db3d7, v12
	v_add_f32_e32 v12, v97, v114
	v_add_f32_e32 v21, v12, v122
	;; [unrolled: 1-line block ×3, first 2 shown]
	v_fmac_f32_e32 v97, -0.5, v12
	v_sub_f32_e32 v12, v157, v119
	v_mov_b32_e32 v23, v97
	v_fmac_f32_e32 v23, 0x3f5db3d7, v12
	v_fmac_f32_e32 v97, 0xbf5db3d7, v12
	v_add_f32_e32 v12, v113, v121
	v_add_f32_e32 v22, v12, v125
	;; [unrolled: 1-line block ×3, first 2 shown]
	v_fmac_f32_e32 v113, -0.5, v12
	v_sub_f32_e32 v12, v118, v126
	v_mov_b32_e32 v15, v113
	v_fmac_f32_e32 v15, 0xbf5db3d7, v12
	v_fmac_f32_e32 v113, 0x3f5db3d7, v12
	v_add_f32_e32 v12, v156, v118
	v_mul_f32_e32 v17, -0.5, v154
	v_add_f32_e32 v24, v12, v126
	v_add_f32_e32 v12, v118, v126
	v_fmac_f32_e32 v17, 0x3f5db3d7, v153
	v_fmac_f32_e32 v156, -0.5, v12
	v_add_f32_e32 v5, v11, v17
	v_sub_f32_e32 v11, v11, v17
	v_sub_f32_e32 v12, v121, v125
	v_mov_b32_e32 v17, v156
	v_fmac_f32_e32 v17, 0x3f5db3d7, v12
	v_fmac_f32_e32 v156, 0xbf5db3d7, v12
	v_mul_f32_e32 v25, 0xbf5db3d7, v17
	v_mul_f32_e32 v26, 0xbf5db3d7, v156
	v_mul_f32_e32 v27, 0.5, v17
	v_mul_f32_e32 v28, -0.5, v156
	v_add_f32_e32 v2, v8, v14
	v_fmac_f32_e32 v25, 0.5, v15
	v_fmac_f32_e32 v26, -0.5, v113
	v_fmac_f32_e32 v27, 0x3f5db3d7, v15
	v_fmac_f32_e32 v28, 0x3f5db3d7, v113
	v_sub_f32_e32 v8, v8, v14
	v_add_f32_e32 v12, v18, v22
	v_add_f32_e32 v14, v20, v25
	;; [unrolled: 1-line block ×6, first 2 shown]
	v_sub_f32_e32 v18, v18, v22
	v_sub_f32_e32 v20, v20, v25
	;; [unrolled: 1-line block ×6, first 2 shown]
	ds_write2_b64 v236, v[0:1], v[2:3] offset1:60
	ds_write2_b64 v236, v[4:5], v[6:7] offset0:120 offset1:180
	ds_write2_b64 v106, v[8:9], v[10:11] offset0:112 offset1:172
	;; [unrolled: 1-line block ×5, first 2 shown]
	buffer_load_dword v1, off, s[20:23], 0 offset:316 ; 4-byte Folded Reload
	v_add_f32_e32 v24, v128, v133
	v_add_f32_e32 v30, v24, v141
	;; [unrolled: 1-line block ×3, first 2 shown]
	v_fma_f32 v31, -0.5, v24, v128
	v_sub_f32_e32 v24, v136, v145
	v_mov_b32_e32 v32, v31
	v_fmac_f32_e32 v32, 0xbf5db3d7, v24
	v_fmac_f32_e32 v31, 0x3f5db3d7, v24
	v_add_f32_e32 v24, v129, v136
	v_add_f32_e32 v33, v24, v145
	;; [unrolled: 1-line block ×3, first 2 shown]
	v_fma_f32 v35, -0.5, v24, v129
	v_sub_f32_e32 v24, v133, v141
	v_mov_b32_e32 v36, v35
	v_fmac_f32_e32 v36, 0x3f5db3d7, v24
	v_fmac_f32_e32 v35, 0xbf5db3d7, v24
	v_add_f32_e32 v24, v127, v139
	v_add_f32_e32 v34, v24, v146
	;; [unrolled: 1-line block ×3, first 2 shown]
	v_fmac_f32_e32 v127, -0.5, v24
	v_sub_f32_e32 v24, v140, v149
	v_mov_b32_e32 v27, v127
	v_fmac_f32_e32 v27, 0xbf5db3d7, v24
	v_fmac_f32_e32 v127, 0x3f5db3d7, v24
	v_add_f32_e32 v24, v132, v140
	v_add_f32_e32 v37, v24, v149
	;; [unrolled: 1-line block ×3, first 2 shown]
	v_fmac_f32_e32 v132, -0.5, v24
	v_sub_f32_e32 v24, v139, v146
	v_mov_b32_e32 v29, v132
	v_fmac_f32_e32 v29, 0x3f5db3d7, v24
	v_fmac_f32_e32 v132, 0xbf5db3d7, v24
	v_mul_f32_e32 v38, 0xbf5db3d7, v29
	v_mul_f32_e32 v94, 0.5, v29
	v_fmac_f32_e32 v38, 0.5, v27
	v_mul_f32_e32 v39, 0xbf5db3d7, v132
	v_fmac_f32_e32 v94, 0x3f5db3d7, v27
	v_mul_f32_e32 v95, -0.5, v132
	v_add_f32_e32 v24, v30, v34
	v_add_f32_e32 v26, v32, v38
	v_fmac_f32_e32 v39, -0.5, v127
	v_add_f32_e32 v25, v33, v37
	v_add_f32_e32 v27, v36, v94
	v_fmac_f32_e32 v95, 0x3f5db3d7, v127
	v_add_f32_e32 v28, v31, v39
	v_add_f32_e32 v29, v35, v95
	v_sub_f32_e32 v30, v30, v34
	v_sub_f32_e32 v34, v31, v39
	;; [unrolled: 1-line block ×6, first 2 shown]
	v_add_f32_e32 v36, v130, v135
	v_add_f32_e32 v96, v36, v143
	;; [unrolled: 1-line block ×3, first 2 shown]
	v_fma_f32 v97, -0.5, v36, v130
	v_sub_f32_e32 v36, v138, v147
	v_mov_b32_e32 v108, v97
	v_fmac_f32_e32 v108, 0xbf5db3d7, v36
	v_fmac_f32_e32 v97, 0x3f5db3d7, v36
	v_add_f32_e32 v36, v131, v138
	v_add_f32_e32 v109, v36, v147
	;; [unrolled: 1-line block ×3, first 2 shown]
	v_fmac_f32_e32 v131, -0.5, v36
	v_sub_f32_e32 v36, v135, v143
	v_mov_b32_e32 v111, v131
	v_fmac_f32_e32 v111, 0x3f5db3d7, v36
	v_fmac_f32_e32 v131, 0xbf5db3d7, v36
	v_add_f32_e32 v36, v137, v150
	v_add_f32_e32 v110, v36, v148
	;; [unrolled: 1-line block ×3, first 2 shown]
	v_fmac_f32_e32 v137, -0.5, v36
	v_sub_f32_e32 v36, v142, v151
	v_mov_b32_e32 v39, v137
	v_fmac_f32_e32 v39, 0xbf5db3d7, v36
	v_fmac_f32_e32 v137, 0x3f5db3d7, v36
	v_add_f32_e32 v36, v134, v142
	v_add_f32_e32 v112, v36, v151
	;; [unrolled: 1-line block ×3, first 2 shown]
	s_waitcnt vmcnt(0)
	v_add_u32_e32 v0, 0x1400, v1
	ds_write2_b64 v0, v[24:25], v[26:27] offset0:80 offset1:140
	v_add_u32_e32 v0, 0x1800, v1
	ds_write2_b64 v0, v[28:29], v[30:31] offset0:72 offset1:132
	ds_write2_b64 v0, v[32:33], v[34:35] offset0:192 offset1:252
	buffer_load_dword v1, off, s[20:23], 0 offset:308 ; 4-byte Folded Reload
	v_fmac_f32_e32 v134, -0.5, v36
	v_sub_f32_e32 v36, v150, v148
	v_mov_b32_e32 v95, v134
	v_fmac_f32_e32 v95, 0x3f5db3d7, v36
	v_fmac_f32_e32 v134, 0xbf5db3d7, v36
	v_mul_f32_e32 v113, 0xbf5db3d7, v95
	v_mul_f32_e32 v115, 0.5, v95
	v_fmac_f32_e32 v113, 0.5, v39
	v_mul_f32_e32 v114, 0xbf5db3d7, v134
	v_fmac_f32_e32 v115, 0x3f5db3d7, v39
	v_mul_f32_e32 v116, -0.5, v134
	v_add_f32_e32 v36, v96, v110
	v_add_f32_e32 v38, v108, v113
	v_fmac_f32_e32 v114, -0.5, v137
	v_add_f32_e32 v37, v109, v112
	v_add_f32_e32 v39, v111, v115
	v_fmac_f32_e32 v116, 0x3f5db3d7, v137
	v_add_f32_e32 v94, v97, v114
	v_add_f32_e32 v95, v131, v116
	v_sub_f32_e32 v96, v96, v110
	v_sub_f32_e32 v110, v97, v114
	;; [unrolled: 1-line block ×3, first 2 shown]
	v_add_f32_e32 v112, v88, v159
	v_sub_f32_e32 v109, v111, v115
	v_sub_f32_e32 v111, v131, v116
	v_add_f32_e32 v116, v112, v163
	v_add_f32_e32 v112, v159, v163
	v_fma_f32 v117, -0.5, v112, v88
	v_sub_f32_e32 v88, v160, v164
	v_mov_b32_e32 v118, v117
	v_fmac_f32_e32 v118, 0xbf5db3d7, v88
	v_fmac_f32_e32 v117, 0x3f5db3d7, v88
	v_add_f32_e32 v88, v89, v160
	v_add_f32_e32 v119, v88, v164
	;; [unrolled: 1-line block ×3, first 2 shown]
	v_fma_f32 v121, -0.5, v88, v89
	v_sub_f32_e32 v88, v159, v163
	v_mov_b32_e32 v122, v121
	v_fmac_f32_e32 v122, 0x3f5db3d7, v88
	v_fmac_f32_e32 v121, 0xbf5db3d7, v88
	v_add_f32_e32 v88, v152, v161
	v_add_f32_e32 v120, v88, v165
	;; [unrolled: 1-line block ×3, first 2 shown]
	v_fmac_f32_e32 v152, -0.5, v88
	v_sub_f32_e32 v108, v108, v113
	v_sub_f32_e32 v88, v162, v166
	v_mov_b32_e32 v113, v152
	v_fmac_f32_e32 v113, 0xbf5db3d7, v88
	v_fmac_f32_e32 v152, 0x3f5db3d7, v88
	v_add_f32_e32 v88, v158, v162
	v_add_f32_e32 v123, v88, v166
	;; [unrolled: 1-line block ×3, first 2 shown]
	v_fmac_f32_e32 v158, -0.5, v88
	v_sub_f32_e32 v88, v161, v165
	v_mov_b32_e32 v115, v158
	v_fmac_f32_e32 v115, 0x3f5db3d7, v88
	v_fmac_f32_e32 v158, 0xbf5db3d7, v88
	v_mul_f32_e32 v124, 0xbf5db3d7, v115
	v_mul_f32_e32 v126, 0.5, v115
	v_fmac_f32_e32 v124, 0.5, v113
	v_mul_f32_e32 v125, 0xbf5db3d7, v158
	v_fmac_f32_e32 v126, 0x3f5db3d7, v113
	v_mul_f32_e32 v127, -0.5, v158
	v_add_f32_e32 v88, v116, v120
	v_add_f32_e32 v112, v118, v124
	v_fmac_f32_e32 v125, -0.5, v152
	v_add_f32_e32 v89, v119, v123
	v_add_f32_e32 v113, v122, v126
	v_fmac_f32_e32 v127, 0x3f5db3d7, v152
	v_add_f32_e32 v114, v117, v125
	v_add_f32_e32 v115, v121, v127
	v_sub_f32_e32 v116, v116, v120
	v_sub_f32_e32 v120, v117, v125
	;; [unrolled: 1-line block ×6, first 2 shown]
	v_add_f32_e32 v122, v90, v169
	v_add_f32_e32 v128, v122, v173
	s_waitcnt vmcnt(0)
	v_add_u32_e32 v0, 0x2000, v1
	ds_write2_b64 v0, v[36:37], v[38:39] offset0:56 offset1:116
	ds_write2_b64 v0, v[94:95], v[96:97] offset0:176 offset1:236
	v_add_u32_e32 v0, 0x2800, v1
	buffer_load_dword v1, off, s[20:23], 0 offset:320 ; 4-byte Folded Reload
	ds_write2_b64 v0, v[108:109], v[110:111] offset0:40 offset1:100
	v_add_f32_e32 v122, v169, v173
	v_fma_f32 v90, -0.5, v122, v90
	v_sub_f32_e32 v122, v170, v174
	v_mov_b32_e32 v129, v90
	v_fmac_f32_e32 v129, 0xbf5db3d7, v122
	v_fmac_f32_e32 v90, 0x3f5db3d7, v122
	v_add_f32_e32 v122, v91, v170
	v_add_f32_e32 v131, v122, v174
	v_add_f32_e32 v122, v170, v174
	v_fmac_f32_e32 v91, -0.5, v122
	v_sub_f32_e32 v122, v169, v173
	v_mov_b32_e32 v132, v91
	v_fmac_f32_e32 v132, 0x3f5db3d7, v122
	v_fmac_f32_e32 v91, 0xbf5db3d7, v122
	v_add_f32_e32 v122, v167, v171
	v_add_f32_e32 v130, v122, v175
	v_add_f32_e32 v122, v171, v175
	v_fmac_f32_e32 v167, -0.5, v122
	;; [unrolled: 8-line block ×3, first 2 shown]
	v_sub_f32_e32 v122, v171, v175
	v_mov_b32_e32 v127, v168
	v_fmac_f32_e32 v127, 0x3f5db3d7, v122
	v_fmac_f32_e32 v168, 0xbf5db3d7, v122
	v_mul_f32_e32 v134, 0xbf5db3d7, v127
	v_mul_f32_e32 v136, 0.5, v127
	v_fmac_f32_e32 v134, 0.5, v125
	v_mul_f32_e32 v135, 0xbf5db3d7, v168
	v_fmac_f32_e32 v136, 0x3f5db3d7, v125
	v_mul_f32_e32 v137, -0.5, v168
	v_add_f32_e32 v122, v128, v130
	v_add_f32_e32 v124, v129, v134
	v_fmac_f32_e32 v135, -0.5, v167
	v_add_f32_e32 v123, v131, v133
	v_add_f32_e32 v125, v132, v136
	v_fmac_f32_e32 v137, 0x3f5db3d7, v167
	v_add_f32_e32 v126, v90, v135
	v_add_f32_e32 v127, v91, v137
	v_sub_f32_e32 v128, v128, v130
	v_sub_f32_e32 v130, v129, v134
	;; [unrolled: 1-line block ×6, first 2 shown]
	s_waitcnt vmcnt(0)
	v_add_u32_e32 v0, 0x2800, v1
	ds_write2_b64 v0, v[88:89], v[112:113] offset0:160 offset1:220
	v_add_u32_e32 v0, 0x3000, v1
	ds_write2_b64 v0, v[114:115], v[116:117] offset0:24 offset1:84
	ds_write2_b64 v0, v[118:119], v[120:121] offset0:144 offset1:204
	buffer_load_dword v1, off, s[20:23], 0 offset:312 ; 4-byte Folded Reload
	s_waitcnt vmcnt(0)
	v_add_u32_e32 v0, 0x3800, v1
	ds_write2_b64 v0, v[122:123], v[124:125] offset0:8 offset1:68
	ds_write2_b64 v0, v[126:127], v[128:129] offset0:128 offset1:188
	v_add_u32_e32 v0, 0x3c00, v1
	ds_write2_b64 v0, v[130:131], v[90:91] offset0:120 offset1:180
	s_waitcnt lgkmcnt(0)
	; wave barrier
	s_waitcnt lgkmcnt(0)
	ds_read2_b64 v[4:7], v236 offset1:60
	ds_read2_b64 v[8:11], v144 offset0:104 offset1:164
	ds_read2_b64 v[12:15], v101 offset0:80 offset1:140
	;; [unrolled: 1-line block ×17, first 2 shown]
	s_waitcnt lgkmcnt(14)
	v_mul_f32_e32 v131, v49, v9
	v_fmac_f32_e32 v131, v48, v8
	v_mul_f32_e32 v8, v49, v8
	v_fma_f32 v48, v48, v9, -v8
	v_mul_f32_e32 v8, v51, v13
	v_mul_f32_e32 v9, v51, v12
	v_fmac_f32_e32 v8, v50, v12
	v_fma_f32 v9, v50, v13, -v9
	v_mul_f32_e32 v12, v41, v17
	v_mul_f32_e32 v13, v41, v16
	v_fmac_f32_e32 v12, v40, v16
	v_fma_f32 v13, v40, v17, -v13
	buffer_load_dword v40, off, s[20:23], 0 offset:332 ; 4-byte Folded Reload
	buffer_load_dword v41, off, s[20:23], 0 offset:336 ; 4-byte Folded Reload
	s_waitcnt lgkmcnt(13)
	v_mul_f32_e32 v16, v43, v21
	v_fmac_f32_e32 v16, v42, v20
	v_mul_f32_e32 v17, v43, v20
	v_fma_f32 v17, v42, v21, -v17
	v_mul_f32_e32 v42, v45, v19
	v_fmac_f32_e32 v42, v44, v18
	s_waitcnt lgkmcnt(10)
	v_mul_f32_e32 v43, v57, v33
	v_fmac_f32_e32 v43, v56, v32
	v_mul_f32_e32 v50, v61, v35
	v_fmac_f32_e32 v50, v60, v34
	s_waitcnt vmcnt(0)
	v_mul_f32_e32 v20, v41, v25
	v_fmac_f32_e32 v20, v40, v24
	v_mul_f32_e32 v21, v41, v24
	v_mul_f32_e32 v24, v53, v11
	v_fmac_f32_e32 v24, v52, v10
	v_mul_f32_e32 v10, v53, v10
	v_fma_f32 v21, v40, v25, -v21
	v_fma_f32 v25, v52, v11, -v10
	v_mul_f32_e32 v40, v55, v15
	v_mul_f32_e32 v10, v55, v14
	v_fmac_f32_e32 v40, v54, v14
	v_fma_f32 v41, v54, v15, -v10
	buffer_load_dword v14, off, s[20:23], 0 offset:324 ; 4-byte Folded Reload
	buffer_load_dword v15, off, s[20:23], 0 offset:328 ; 4-byte Folded Reload
	v_mul_f32_e32 v10, v45, v18
	v_fma_f32 v18, v44, v19, -v10
	v_mul_f32_e32 v19, v47, v23
	v_mul_f32_e32 v10, v47, v22
	v_fmac_f32_e32 v19, v46, v22
	v_fma_f32 v22, v46, v23, -v10
	s_waitcnt lgkmcnt(9)
	v_mul_f32_e32 v52, v63, v39
	s_waitcnt lgkmcnt(8)
	v_mul_f32_e32 v54, v65, v91
	;; [unrolled: 2-line block ×3, first 2 shown]
	v_fmac_f32_e32 v52, v62, v38
	v_fmac_f32_e32 v45, v70, v94
	s_waitcnt lgkmcnt(6)
	v_mul_f32_e32 v47, v255, v108
	v_fmac_f32_e32 v47, v254, v107
	v_fmac_f32_e32 v54, v64, v90
	s_waitcnt vmcnt(0)
	v_mul_f32_e32 v23, v15, v27
	v_mul_f32_e32 v10, v15, v26
	v_fmac_f32_e32 v23, v14, v26
	v_fma_f32 v26, v14, v27, -v10
	buffer_load_dword v14, off, s[20:23], 0 offset:340 ; 4-byte Folded Reload
	buffer_load_dword v15, off, s[20:23], 0 offset:344 ; 4-byte Folded Reload
	v_mul_f32_e32 v10, v57, v32
	v_fma_f32 v44, v56, v33, -v10
	v_mul_f32_e32 v10, v59, v36
	v_fma_f32 v33, v58, v37, -v10
	v_mul_f32_e32 v10, v69, v88
	v_mul_f32_e32 v32, v59, v37
	v_fma_f32 v37, v68, v89, -v10
	v_mul_f32_e32 v10, v71, v94
	v_fma_f32 v46, v70, v95, -v10
	v_mul_f32_e32 v10, v255, v107
	v_fma_f32 v49, v254, v108, -v10
	v_mul_f32_e32 v10, v61, v34
	v_fma_f32 v51, v60, v35, -v10
	v_mul_f32_e32 v10, v63, v38
	v_fma_f32 v53, v62, v39, -v10
	v_mul_f32_e32 v10, v65, v90
	v_fma_f32 v55, v64, v91, -v10
	v_mul_f32_e32 v10, v67, v96
	v_fma_f32 v57, v66, v97, -v10
	v_mul_f32_e32 v56, v67, v97
	v_fmac_f32_e32 v32, v58, v36
	v_mul_f32_e32 v36, v69, v89
	s_waitcnt lgkmcnt(4)
	v_mul_f32_e32 v60, v73, v112
	s_waitcnt lgkmcnt(3)
	v_mul_f32_e32 v62, v75, v116
	v_mul_f32_e32 v70, v77, v114
	v_fmac_f32_e32 v60, v72, v111
	v_fmac_f32_e32 v36, v68, v88
	;; [unrolled: 1-line block ×3, first 2 shown]
	s_waitcnt lgkmcnt(2)
	v_mul_f32_e32 v64, v81, v120
	v_fmac_f32_e32 v64, v80, v119
	v_fmac_f32_e32 v62, v74, v115
	s_waitcnt lgkmcnt(1)
	v_mul_f32_e32 v66, v83, v124
	v_fmac_f32_e32 v66, v82, v123
	s_waitcnt lgkmcnt(0)
	v_mul_f32_e32 v68, v223, v128
	v_fmac_f32_e32 v68, v222, v127
	v_fmac_f32_e32 v70, v76, v113
	s_waitcnt vmcnt(0)
	v_mul_f32_e32 v10, v15, v109
	v_fma_f32 v59, v14, v110, -v10
	v_mul_f32_e32 v10, v73, v111
	v_fma_f32 v61, v72, v112, -v10
	;; [unrolled: 2-line block ×10, first 2 shown]
	v_mul_f32_e32 v10, v221, v129
	v_mul_f32_e32 v58, v15, v110
	;; [unrolled: 1-line block ×3, first 2 shown]
	v_fma_f32 v79, v220, v130, -v10
	v_add_f32_e32 v10, v4, v8
	v_fmac_f32_e32 v58, v14, v109
	v_add_f32_e32 v14, v10, v16
	v_add_f32_e32 v10, v8, v16
	v_fma_f32 v15, -0.5, v10, v4
	v_sub_f32_e32 v4, v9, v17
	v_mov_b32_e32 v27, v15
	v_fmac_f32_e32 v27, 0xbf5db3d7, v4
	v_fmac_f32_e32 v15, 0x3f5db3d7, v4
	v_add_f32_e32 v4, v5, v9
	v_add_f32_e32 v34, v4, v17
	;; [unrolled: 1-line block ×3, first 2 shown]
	v_fma_f32 v17, -0.5, v4, v5
	v_sub_f32_e32 v4, v8, v16
	v_mov_b32_e32 v35, v17
	v_fmac_f32_e32 v35, 0x3f5db3d7, v4
	v_fmac_f32_e32 v17, 0xbf5db3d7, v4
	v_add_f32_e32 v4, v131, v12
	v_add_f32_e32 v16, v4, v20
	v_add_f32_e32 v4, v12, v20
	v_fmac_f32_e32 v131, -0.5, v4
	v_sub_f32_e32 v4, v13, v21
	v_mov_b32_e32 v9, v131
	v_fmac_f32_e32 v9, 0xbf5db3d7, v4
	v_fmac_f32_e32 v131, 0x3f5db3d7, v4
	v_add_f32_e32 v4, v48, v13
	v_add_f32_e32 v38, v4, v21
	;; [unrolled: 1-line block ×3, first 2 shown]
	v_fmac_f32_e32 v48, -0.5, v4
	v_sub_f32_e32 v4, v12, v20
	v_mov_b32_e32 v11, v48
	v_fmac_f32_e32 v48, 0xbf5db3d7, v4
	v_fmac_f32_e32 v11, 0x3f5db3d7, v4
	v_mul_f32_e32 v20, 0xbf5db3d7, v48
	v_mul_f32_e32 v13, 0xbf5db3d7, v11
	v_fmac_f32_e32 v20, -0.5, v131
	v_add_f32_e32 v4, v14, v16
	v_fmac_f32_e32 v13, 0.5, v9
	v_add_f32_e32 v10, v15, v20
	v_sub_f32_e32 v12, v14, v16
	v_sub_f32_e32 v16, v15, v20
	v_add_f32_e32 v20, v6, v40
	v_add_f32_e32 v8, v27, v13
	v_sub_f32_e32 v14, v27, v13
	v_add_f32_e32 v27, v20, v19
	v_add_f32_e32 v20, v40, v19
	v_fma_f32 v6, -0.5, v20, v6
	v_add_f32_e32 v5, v34, v38
	v_mul_f32_e32 v21, 0.5, v11
	v_sub_f32_e32 v13, v34, v38
	v_sub_f32_e32 v20, v41, v22
	v_mov_b32_e32 v34, v6
	v_fmac_f32_e32 v21, 0x3f5db3d7, v9
	v_fmac_f32_e32 v34, 0xbf5db3d7, v20
	;; [unrolled: 1-line block ×3, first 2 shown]
	v_add_f32_e32 v20, v7, v41
	v_add_f32_e32 v9, v35, v21
	v_sub_f32_e32 v15, v35, v21
	v_add_f32_e32 v35, v20, v22
	v_add_f32_e32 v20, v41, v22
	v_fmac_f32_e32 v7, -0.5, v20
	v_mul_f32_e32 v39, -0.5, v48
	v_sub_f32_e32 v19, v40, v19
	v_mov_b32_e32 v38, v7
	v_fmac_f32_e32 v39, 0x3f5db3d7, v131
	v_fmac_f32_e32 v38, 0x3f5db3d7, v19
	v_fmac_f32_e32 v7, 0xbf5db3d7, v19
	v_add_f32_e32 v19, v24, v42
	v_add_f32_e32 v11, v17, v39
	v_sub_f32_e32 v17, v17, v39
	v_add_f32_e32 v39, v19, v23
	v_add_f32_e32 v19, v42, v23
	v_fmac_f32_e32 v24, -0.5, v19
	v_sub_f32_e32 v19, v18, v26
	v_mov_b32_e32 v21, v24
	v_fmac_f32_e32 v21, 0xbf5db3d7, v19
	v_fmac_f32_e32 v24, 0x3f5db3d7, v19
	v_add_f32_e32 v19, v25, v18
	v_add_f32_e32 v18, v18, v26
	v_fmac_f32_e32 v25, -0.5, v18
	v_sub_f32_e32 v18, v42, v23
	v_mov_b32_e32 v23, v25
	v_fmac_f32_e32 v23, 0x3f5db3d7, v18
	v_add_f32_e32 v40, v19, v26
	v_mul_f32_e32 v26, 0xbf5db3d7, v23
	v_fmac_f32_e32 v25, 0xbf5db3d7, v18
	v_fmac_f32_e32 v26, 0.5, v21
	v_mul_f32_e32 v42, 0.5, v23
	v_add_f32_e32 v20, v34, v26
	v_mul_f32_e32 v41, 0xbf5db3d7, v25
	v_fmac_f32_e32 v42, 0x3f5db3d7, v21
	v_mul_f32_e32 v48, -0.5, v25
	v_sub_f32_e32 v26, v34, v26
	v_add_f32_e32 v34, v28, v32
	v_add_f32_e32 v18, v27, v39
	v_fmac_f32_e32 v41, -0.5, v24
	v_add_f32_e32 v21, v38, v42
	v_fmac_f32_e32 v48, 0x3f5db3d7, v24
	v_sub_f32_e32 v24, v27, v39
	v_sub_f32_e32 v27, v38, v42
	v_add_f32_e32 v38, v34, v45
	v_add_f32_e32 v34, v32, v45
	v_fma_f32 v39, -0.5, v34, v28
	v_add_f32_e32 v19, v35, v40
	v_sub_f32_e32 v25, v35, v40
	v_sub_f32_e32 v28, v33, v46
	v_mov_b32_e32 v40, v39
	v_fmac_f32_e32 v40, 0xbf5db3d7, v28
	v_fmac_f32_e32 v39, 0x3f5db3d7, v28
	v_add_f32_e32 v28, v29, v33
	v_add_f32_e32 v22, v6, v41
	v_sub_f32_e32 v6, v6, v41
	v_add_f32_e32 v41, v28, v46
	v_add_f32_e32 v28, v33, v46
	v_fma_f32 v42, -0.5, v28, v29
	v_sub_f32_e32 v28, v32, v45
	v_mov_b32_e32 v45, v42
	v_fmac_f32_e32 v45, 0x3f5db3d7, v28
	v_fmac_f32_e32 v42, 0xbf5db3d7, v28
	v_add_f32_e32 v28, v43, v36
	v_add_f32_e32 v46, v28, v47
	v_add_f32_e32 v28, v36, v47
	v_fmac_f32_e32 v43, -0.5, v28
	v_sub_f32_e32 v28, v37, v49
	v_mov_b32_e32 v33, v43
	v_fmac_f32_e32 v33, 0xbf5db3d7, v28
	v_fmac_f32_e32 v43, 0x3f5db3d7, v28
	v_add_f32_e32 v28, v44, v37
	v_add_f32_e32 v23, v7, v48
	v_sub_f32_e32 v7, v7, v48
	v_add_f32_e32 v48, v28, v49
	v_add_f32_e32 v28, v37, v49
	v_fmac_f32_e32 v44, -0.5, v28
	v_sub_f32_e32 v28, v36, v47
	v_mov_b32_e32 v35, v44
	v_fmac_f32_e32 v35, 0x3f5db3d7, v28
	v_fmac_f32_e32 v44, 0xbf5db3d7, v28
	v_mul_f32_e32 v37, 0xbf5db3d7, v35
	v_mul_f32_e32 v47, 0xbf5db3d7, v44
	v_mul_f32_e32 v44, -0.5, v44
	v_fmac_f32_e32 v37, 0.5, v33
	v_fmac_f32_e32 v44, 0x3f5db3d7, v43
	v_add_f32_e32 v28, v38, v46
	v_add_f32_e32 v32, v40, v37
	;; [unrolled: 1-line block ×3, first 2 shown]
	v_mul_f32_e32 v49, 0.5, v35
	v_add_f32_e32 v35, v42, v44
	v_sub_f32_e32 v36, v38, v46
	v_sub_f32_e32 v38, v40, v37
	;; [unrolled: 1-line block ×4, first 2 shown]
	v_add_f32_e32 v42, v30, v52
	v_add_f32_e32 v48, v42, v56
	;; [unrolled: 1-line block ×3, first 2 shown]
	v_fmac_f32_e32 v47, -0.5, v43
	v_fmac_f32_e32 v49, 0x3f5db3d7, v33
	v_fma_f32 v30, -0.5, v42, v30
	v_add_f32_e32 v34, v39, v47
	v_add_f32_e32 v33, v45, v49
	v_sub_f32_e32 v40, v39, v47
	v_sub_f32_e32 v39, v45, v49
	;; [unrolled: 1-line block ×3, first 2 shown]
	v_mov_b32_e32 v49, v30
	v_fmac_f32_e32 v49, 0xbf5db3d7, v42
	v_fmac_f32_e32 v30, 0x3f5db3d7, v42
	v_add_f32_e32 v42, v31, v53
	v_add_f32_e32 v80, v42, v57
	v_add_f32_e32 v42, v53, v57
	v_fmac_f32_e32 v31, -0.5, v42
	v_sub_f32_e32 v42, v52, v56
	v_mov_b32_e32 v52, v31
	v_fmac_f32_e32 v52, 0x3f5db3d7, v42
	v_fmac_f32_e32 v31, 0xbf5db3d7, v42
	v_add_f32_e32 v42, v50, v54
	v_add_f32_e32 v53, v42, v58
	v_add_f32_e32 v42, v54, v58
	v_fmac_f32_e32 v50, -0.5, v42
	v_sub_f32_e32 v42, v55, v59
	;; [unrolled: 8-line block ×3, first 2 shown]
	v_mov_b32_e32 v47, v51
	v_fmac_f32_e32 v47, 0x3f5db3d7, v42
	v_mul_f32_e32 v57, 0.5, v47
	v_fmac_f32_e32 v51, 0xbf5db3d7, v42
	v_mul_f32_e32 v54, 0xbf5db3d7, v47
	v_fmac_f32_e32 v57, 0x3f5db3d7, v45
	v_fmac_f32_e32 v54, 0.5, v45
	v_mul_f32_e32 v55, 0xbf5db3d7, v51
	v_add_f32_e32 v45, v52, v57
	v_mul_f32_e32 v58, -0.5, v51
	v_sub_f32_e32 v51, v52, v57
	v_add_f32_e32 v52, v0, v62
	v_add_f32_e32 v44, v49, v54
	v_fmac_f32_e32 v55, -0.5, v50
	v_add_f32_e32 v43, v80, v56
	v_fmac_f32_e32 v58, 0x3f5db3d7, v50
	v_sub_f32_e32 v50, v49, v54
	v_sub_f32_e32 v49, v80, v56
	v_add_f32_e32 v56, v52, v66
	v_add_f32_e32 v52, v62, v66
	v_fma_f32 v57, -0.5, v52, v0
	v_add_f32_e32 v47, v31, v58
	v_sub_f32_e32 v31, v31, v58
	v_sub_f32_e32 v0, v63, v67
	v_mov_b32_e32 v58, v57
	v_fmac_f32_e32 v58, 0xbf5db3d7, v0
	v_fmac_f32_e32 v57, 0x3f5db3d7, v0
	v_add_f32_e32 v0, v1, v63
	v_add_f32_e32 v59, v0, v67
	;; [unrolled: 1-line block ×3, first 2 shown]
	v_fma_f32 v63, -0.5, v0, v1
	v_sub_f32_e32 v0, v62, v66
	v_mov_b32_e32 v62, v63
	v_fmac_f32_e32 v62, 0x3f5db3d7, v0
	v_fmac_f32_e32 v63, 0xbf5db3d7, v0
	v_add_f32_e32 v0, v60, v64
	v_add_f32_e32 v66, v0, v68
	;; [unrolled: 1-line block ×3, first 2 shown]
	v_fmac_f32_e32 v60, -0.5, v0
	v_add_f32_e32 v42, v48, v53
	v_sub_f32_e32 v48, v48, v53
	v_sub_f32_e32 v0, v65, v69
	v_mov_b32_e32 v53, v60
	v_fmac_f32_e32 v53, 0xbf5db3d7, v0
	v_fmac_f32_e32 v60, 0x3f5db3d7, v0
	v_add_f32_e32 v0, v61, v65
	v_add_f32_e32 v67, v0, v69
	;; [unrolled: 1-line block ×3, first 2 shown]
	v_fmac_f32_e32 v61, -0.5, v0
	v_add_f32_e32 v46, v30, v55
	v_sub_f32_e32 v30, v30, v55
	v_sub_f32_e32 v0, v64, v68
	v_mov_b32_e32 v55, v61
	v_fmac_f32_e32 v55, 0x3f5db3d7, v0
	v_fmac_f32_e32 v61, 0xbf5db3d7, v0
	v_mul_f32_e32 v65, 0xbf5db3d7, v61
	v_mul_f32_e32 v68, 0.5, v55
	v_fmac_f32_e32 v72, v78, v117
	v_mul_f32_e32 v76, v87, v126
	v_mul_f32_e32 v64, 0xbf5db3d7, v55
	v_fmac_f32_e32 v65, -0.5, v60
	v_fmac_f32_e32 v68, 0x3f5db3d7, v53
	v_mul_f32_e32 v61, -0.5, v61
	v_fmac_f32_e32 v76, v86, v125
	v_fmac_f32_e32 v64, 0.5, v53
	v_add_f32_e32 v54, v57, v65
	v_add_f32_e32 v1, v59, v67
	;; [unrolled: 1-line block ×3, first 2 shown]
	v_fmac_f32_e32 v61, 0x3f5db3d7, v60
	v_sub_f32_e32 v60, v57, v65
	v_sub_f32_e32 v57, v59, v67
	;; [unrolled: 1-line block ×3, first 2 shown]
	v_add_f32_e32 v62, v2, v72
	v_add_f32_e32 v68, v62, v76
	;; [unrolled: 1-line block ×3, first 2 shown]
	v_fma_f32 v2, -0.5, v62, v2
	v_sub_f32_e32 v62, v73, v77
	v_mov_b32_e32 v69, v2
	v_fmac_f32_e32 v69, 0xbf5db3d7, v62
	v_fmac_f32_e32 v2, 0x3f5db3d7, v62
	v_add_f32_e32 v62, v3, v73
	v_add_f32_e32 v80, v62, v77
	v_add_f32_e32 v62, v73, v77
	v_mul_f32_e32 v74, v85, v122
	v_fmac_f32_e32 v3, -0.5, v62
	v_fmac_f32_e32 v74, v84, v121
	v_mul_f32_e32 v78, v221, v130
	v_sub_f32_e32 v62, v72, v76
	v_mov_b32_e32 v72, v3
	v_fmac_f32_e32 v78, v220, v129
	v_fmac_f32_e32 v72, 0x3f5db3d7, v62
	;; [unrolled: 1-line block ×3, first 2 shown]
	v_add_f32_e32 v62, v70, v74
	v_add_f32_e32 v73, v62, v78
	;; [unrolled: 1-line block ×3, first 2 shown]
	v_fmac_f32_e32 v70, -0.5, v62
	v_sub_f32_e32 v62, v75, v79
	v_mov_b32_e32 v65, v70
	v_fmac_f32_e32 v65, 0xbf5db3d7, v62
	v_fmac_f32_e32 v70, 0x3f5db3d7, v62
	v_add_f32_e32 v62, v71, v75
	v_add_f32_e32 v76, v62, v79
	;; [unrolled: 1-line block ×3, first 2 shown]
	v_fmac_f32_e32 v71, -0.5, v62
	v_sub_f32_e32 v62, v74, v78
	v_mov_b32_e32 v67, v71
	v_fmac_f32_e32 v71, 0xbf5db3d7, v62
	v_fmac_f32_e32 v67, 0x3f5db3d7, v62
	v_mul_f32_e32 v78, -0.5, v71
	v_mul_f32_e32 v74, 0xbf5db3d7, v67
	v_mul_f32_e32 v75, 0xbf5db3d7, v71
	v_mul_f32_e32 v77, 0.5, v67
	v_fmac_f32_e32 v78, 0x3f5db3d7, v70
	ds_write_b64 v236, v[8:9] offset:2880
	ds_write_b64 v236, v[10:11] offset:5760
	;; [unrolled: 1-line block ×5, first 2 shown]
	ds_write2_b64 v236, v[4:5], v[18:19] offset1:60
	ds_write_b64 v236, v[24:25] offset:9120
	ds_write2_b64 v144, v[20:21], v[32:33] offset0:164 offset1:224
	ds_write2_b64 v104, v[22:23], v[34:35] offset0:12 offset1:72
	ds_write_b64 v236, v[36:37] offset:9600
	v_add_u32_e32 v4, 0x2c00, v236
	v_add_f32_e32 v0, v56, v66
	v_add_f32_e32 v52, v58, v64
	;; [unrolled: 1-line block ×3, first 2 shown]
	v_sub_f32_e32 v56, v56, v66
	v_fmac_f32_e32 v74, 0.5, v65
	v_fmac_f32_e32 v75, -0.5, v70
	v_fmac_f32_e32 v77, 0x3f5db3d7, v65
	v_add_f32_e32 v67, v3, v78
	v_sub_f32_e32 v3, v3, v78
	ds_write2_b64 v4, v[26:27], v[38:39] offset0:92 offset1:152
	ds_write2_b64 v103, v[6:7], v[40:41] offset0:68 offset1:128
	;; [unrolled: 1-line block ×5, first 2 shown]
	v_add_u32_e32 v4, 0x2400, v236
	v_sub_f32_e32 v58, v58, v64
	v_sub_f32_e32 v61, v63, v61
	v_add_f32_e32 v62, v68, v73
	v_add_f32_e32 v64, v69, v74
	;; [unrolled: 1-line block ×5, first 2 shown]
	v_sub_f32_e32 v68, v68, v73
	v_sub_f32_e32 v70, v69, v74
	;; [unrolled: 1-line block ×5, first 2 shown]
	ds_write2_b64 v4, v[48:49], v[56:57] offset0:108 offset1:168
	ds_write2_b64 v98, v[50:51], v[58:59] offset0:84 offset1:144
	;; [unrolled: 1-line block ×4, first 2 shown]
	ds_write_b64 v236, v[64:65] offset:5280
	ds_write_b64 v236, v[66:67] offset:8160
	;; [unrolled: 1-line block ×5, first 2 shown]
	s_waitcnt lgkmcnt(0)
	; wave barrier
	s_waitcnt lgkmcnt(0)
	ds_read2_b64 v[11:14], v236 offset1:60
	buffer_load_dword v3, off, s[20:23], 0 offset:236 ; 4-byte Folded Reload
	buffer_load_dword v4, off, s[20:23], 0 offset:240 ; 4-byte Folded Reload
	buffer_load_dword v8, off, s[20:23], 0  ; 4-byte Folded Reload
	v_mov_b32_e32 v37, 0xd80
	s_waitcnt vmcnt(1) lgkmcnt(0)
	v_mul_f32_e32 v0, v4, v12
	v_fmac_f32_e32 v0, v3, v11
	v_cvt_f64_f32_e32 v[0:1], v0
	v_mul_f32_e32 v2, v4, v11
	v_fma_f32 v2, v3, v12, -v2
	v_cvt_f64_f32_e32 v[2:3], v2
	v_mul_f64 v[0:1], v[0:1], s[4:5]
	s_waitcnt vmcnt(0)
	v_mad_u64_u32 v[4:5], s[6:7], s8, v8, 0
	v_mul_f64 v[6:7], v[2:3], s[4:5]
	v_mov_b32_e32 v2, v5
	v_mad_u64_u32 v[8:9], s[6:7], s9, v8, v[2:3]
	v_cvt_f32_f64_e32 v9, v[0:1]
	ds_read2_b64 v[0:3], v236 offset0:120 offset1:216
	buffer_load_dword v17, off, s[20:23], 0 offset:228 ; 4-byte Folded Reload
	buffer_load_dword v18, off, s[20:23], 0 offset:232 ; 4-byte Folded Reload
	v_cvt_f32_f64_e32 v10, v[6:7]
	v_lshlrev_b64 v[6:7], 3, v[92:93]
	v_mov_b32_e32 v5, v8
	v_mov_b32_e32 v8, s3
	v_lshlrev_b64 v[4:5], 3, v[4:5]
	s_mul_hi_u32 s3, s8, 0xd8
	s_waitcnt vmcnt(0) lgkmcnt(0)
	v_mul_f32_e32 v11, v18, v3
	v_fmac_f32_e32 v11, v17, v2
	v_cvt_f64_f32_e32 v[15:16], v11
	v_add_co_u32_e32 v11, vcc, s2, v6
	v_addc_co_u32_e32 v12, vcc, v8, v7, vcc
	v_add_co_u32_e32 v19, vcc, v11, v4
	v_addc_co_u32_e32 v20, vcc, v12, v5, vcc
	v_mul_f32_e32 v2, v18, v2
	global_store_dwordx2 v[19:20], v[9:10], off
	v_fma_f32 v2, v17, v3, -v2
	v_mul_f64 v[6:7], v[15:16], s[4:5]
	ds_read2_b64 v[15:18], v144 offset0:176 offset1:236
	buffer_load_dword v8, off, s[20:23], 0 offset:204 ; 4-byte Folded Reload
	buffer_load_dword v9, off, s[20:23], 0 offset:208 ; 4-byte Folded Reload
	v_cvt_f64_f32_e32 v[2:3], v2
	s_mul_i32 s2, s9, 0xd8
	s_add_i32 s3, s3, s2
	s_mul_i32 s2, s8, 0xd8
	v_mul_f64 v[2:3], v[2:3], s[4:5]
	v_cvt_f32_f64_e32 v6, v[6:7]
	s_lshl_b64 s[2:3], s[2:3], 3
	v_mov_b32_e32 v10, s3
	v_add_co_u32_e32 v23, vcc, s2, v19
	v_addc_co_u32_e32 v24, vcc, v20, v10, vcc
	v_cvt_f32_f64_e32 v7, v[2:3]
	global_store_dwordx2 v[23:24], v[6:7], off
	s_waitcnt vmcnt(1) lgkmcnt(0)
	v_mul_f32_e32 v4, v9, v15
	v_fma_f32 v4, v8, v16, -v4
	v_cvt_f64_f32_e32 v[4:5], v4
	v_mul_f32_e32 v2, v9, v16
	v_fmac_f32_e32 v2, v8, v15
	v_cvt_f64_f32_e32 v[2:3], v2
	v_mul_f64 v[15:16], v[4:5], s[4:5]
	v_mul_f64 v[8:9], v[2:3], s[4:5]
	ds_read2_b64 v[2:5], v105 offset0:40 offset1:136
	v_cvt_f32_f64_e32 v7, v[15:16]
	buffer_load_dword v15, off, s[20:23], 0 offset:196 ; 4-byte Folded Reload
	buffer_load_dword v16, off, s[20:23], 0 offset:200 ; 4-byte Folded Reload
	ds_read2_b64 v[19:22], v104 offset0:96 offset1:156
	v_cvt_f32_f64_e32 v6, v[8:9]
	s_waitcnt vmcnt(0) lgkmcnt(1)
	v_mul_f32_e32 v8, v16, v5
	v_fmac_f32_e32 v8, v15, v4
	v_mul_f32_e32 v4, v16, v4
	v_fma_f32 v4, v15, v5, -v4
	v_add_co_u32_e32 v15, vcc, s2, v23
	v_addc_co_u32_e32 v16, vcc, v24, v10, vcc
	global_store_dwordx2 v[15:16], v[6:7], off
	buffer_load_dword v23, off, s[20:23], 0 offset:164 ; 4-byte Folded Reload
	buffer_load_dword v24, off, s[20:23], 0 offset:168 ; 4-byte Folded Reload
	v_cvt_f64_f32_e32 v[8:9], v8
	v_cvt_f64_f32_e32 v[4:5], v4
	v_add_co_u32_e32 v15, vcc, s2, v15
	v_mul_f64 v[6:7], v[8:9], s[4:5]
	v_mul_f64 v[4:5], v[4:5], s[4:5]
	v_addc_co_u32_e32 v16, vcc, v16, v10, vcc
	s_waitcnt vmcnt(0) lgkmcnt(0)
	v_mul_f32_e32 v8, v24, v20
	v_fmac_f32_e32 v8, v23, v19
	v_mul_f32_e32 v19, v24, v19
	v_fma_f32 v19, v23, v20, -v19
	v_cvt_f32_f64_e32 v23, v[6:7]
	v_cvt_f32_f64_e32 v24, v[4:5]
	v_add_u32_e32 v4, 0x1c00, v236
	ds_read2_b64 v[4:7], v4 offset0:88 offset1:184
	v_cvt_f64_f32_e32 v[8:9], v8
	global_store_dwordx2 v[15:16], v[23:24], off
	buffer_load_dword v23, off, s[20:23], 0 offset:148 ; 4-byte Folded Reload
	s_nop 0
	buffer_load_dword v24, off, s[20:23], 0 offset:152 ; 4-byte Folded Reload
	v_cvt_f64_f32_e32 v[19:20], v19
	v_mul_f64 v[8:9], v[8:9], s[4:5]
	v_add_co_u32_e32 v15, vcc, s2, v15
	v_mul_f64 v[19:20], v[19:20], s[4:5]
	v_addc_co_u32_e32 v16, vcc, v16, v10, vcc
	v_cvt_f32_f64_e32 v8, v[8:9]
	v_cvt_f32_f64_e32 v9, v[19:20]
	global_store_dwordx2 v[15:16], v[8:9], off
	v_add_co_u32_e32 v15, vcc, s2, v15
	v_addc_co_u32_e32 v16, vcc, v16, v10, vcc
	s_waitcnt vmcnt(1) lgkmcnt(0)
	v_mul_f32_e32 v19, v24, v7
	v_fmac_f32_e32 v19, v23, v6
	v_mul_f32_e32 v6, v24, v6
	v_fma_f32 v6, v23, v7, -v6
	ds_read2_b64 v[23:26], v102 offset0:16 offset1:76
	buffer_load_dword v27, off, s[20:23], 0 offset:180 ; 4-byte Folded Reload
	buffer_load_dword v28, off, s[20:23], 0 offset:184 ; 4-byte Folded Reload
	v_cvt_f64_f32_e32 v[19:20], v19
	v_cvt_f64_f32_e32 v[6:7], v6
	v_mul_f64 v[8:9], v[19:20], s[4:5]
	v_mul_f64 v[6:7], v[6:7], s[4:5]
	s_waitcnt vmcnt(0) lgkmcnt(0)
	v_mul_f32_e32 v19, v28, v24
	v_fmac_f32_e32 v19, v27, v23
	v_mul_f32_e32 v23, v28, v23
	v_fma_f32 v23, v27, v24, -v23
	v_cvt_f32_f64_e32 v27, v[8:9]
	v_cvt_f32_f64_e32 v28, v[6:7]
	ds_read2_b64 v[6:9], v102 offset0:136 offset1:232
	v_cvt_f64_f32_e32 v[19:20], v19
	v_cvt_f64_f32_e32 v[23:24], v23
	global_store_dwordx2 v[15:16], v[27:28], off
	buffer_load_dword v27, off, s[20:23], 0 offset:140 ; 4-byte Folded Reload
	s_nop 0
	buffer_load_dword v28, off, s[20:23], 0 offset:144 ; 4-byte Folded Reload
	v_mul_f64 v[19:20], v[19:20], s[4:5]
	v_mul_f64 v[23:24], v[23:24], s[4:5]
	v_add_co_u32_e32 v15, vcc, s2, v15
	v_addc_co_u32_e32 v16, vcc, v16, v10, vcc
	v_cvt_f32_f64_e32 v19, v[19:20]
	v_cvt_f32_f64_e32 v20, v[23:24]
	global_store_dwordx2 v[15:16], v[19:20], off
	v_add_co_u32_e32 v15, vcc, s2, v15
	v_addc_co_u32_e32 v16, vcc, v16, v10, vcc
	s_waitcnt vmcnt(1) lgkmcnt(0)
	v_mul_f32_e32 v23, v28, v9
	v_fmac_f32_e32 v23, v27, v8
	v_mul_f32_e32 v8, v28, v8
	v_fma_f32 v8, v27, v9, -v8
	ds_read2_b64 v[27:30], v98 offset0:192 offset1:252
	buffer_load_dword v31, off, s[20:23], 0 offset:124 ; 4-byte Folded Reload
	buffer_load_dword v32, off, s[20:23], 0 offset:128 ; 4-byte Folded Reload
	v_cvt_f64_f32_e32 v[23:24], v23
	v_cvt_f64_f32_e32 v[8:9], v8
	v_mul_f64 v[19:20], v[23:24], s[4:5]
	v_mul_f64 v[8:9], v[8:9], s[4:5]
	v_cvt_f32_f64_e32 v19, v[19:20]
	v_cvt_f32_f64_e32 v20, v[8:9]
	global_store_dwordx2 v[15:16], v[19:20], off
	s_waitcnt vmcnt(1) lgkmcnt(0)
	v_mul_f32_e32 v23, v32, v28
	v_fmac_f32_e32 v23, v31, v27
	v_mul_f32_e32 v27, v32, v27
	v_fma_f32 v27, v31, v28, -v27
	buffer_load_dword v31, off, s[20:23], 0 offset:96 ; 4-byte Folded Reload
	v_cvt_f64_f32_e32 v[23:24], v23
	v_cvt_f64_f32_e32 v[27:28], v27
	v_mul_f64 v[8:9], v[23:24], s[4:5]
	v_mul_f64 v[23:24], v[27:28], s[4:5]
	v_cvt_f32_f64_e32 v8, v[8:9]
	v_cvt_f32_f64_e32 v9, v[23:24]
	s_waitcnt vmcnt(0)
	v_mad_u64_u32 v[27:28], s[6:7], s8, v31, 0
	v_mov_b32_e32 v19, v28
	v_mad_u64_u32 v[19:20], s[6:7], s9, v31, v[19:20]
	ds_read2_b64 v[31:34], v103 offset0:56 offset1:152
	buffer_load_dword v35, off, s[20:23], 0 offset:100 ; 4-byte Folded Reload
	buffer_load_dword v36, off, s[20:23], 0 offset:104 ; 4-byte Folded Reload
	v_mov_b32_e32 v28, v19
	v_lshlrev_b64 v[19:20], 3, v[27:28]
	v_add_co_u32_e32 v19, vcc, v11, v19
	v_addc_co_u32_e32 v20, vcc, v12, v20, vcc
	s_waitcnt vmcnt(0) lgkmcnt(0)
	v_mul_f32_e32 v23, v36, v34
	v_mul_f32_e32 v27, v36, v33
	v_fmac_f32_e32 v23, v35, v33
	v_fma_f32 v27, v35, v34, -v27
	buffer_load_dword v35, off, s[20:23], 0 offset:108 ; 4-byte Folded Reload
	buffer_load_dword v36, off, s[20:23], 0 offset:112 ; 4-byte Folded Reload
	v_cvt_f64_f32_e32 v[23:24], v23
	v_cvt_f64_f32_e32 v[27:28], v27
	global_store_dwordx2 v[19:20], v[8:9], off
	v_mul_f64 v[23:24], v[23:24], s[4:5]
	v_mul_f64 v[27:28], v[27:28], s[4:5]
	v_cvt_f32_f64_e32 v23, v[23:24]
	v_cvt_f32_f64_e32 v24, v[27:28]
	s_waitcnt vmcnt(1)
	v_mul_f32_e32 v33, v36, v14
	v_fmac_f32_e32 v33, v35, v13
	v_mul_f32_e32 v13, v36, v13
	v_fma_f32 v13, v35, v14, -v13
	v_cvt_f64_f32_e32 v[13:14], v13
	v_mad_u64_u32 v[35:36], s[6:7], s8, v37, v[15:16]
	v_cvt_f64_f32_e32 v[33:34], v33
	v_mul_f64 v[13:14], v[13:14], s[4:5]
	v_add_u32_e32 v36, s13, v36
	global_store_dwordx2 v[35:36], v[23:24], off
	v_mul_f64 v[33:34], v[33:34], s[4:5]
	s_mul_hi_u32 s7, s8, 0xfffff8a4
	s_mul_i32 s6, s9, 0xfffff8a4
	s_sub_i32 s7, s7, s8
	s_add_i32 s7, s7, s6
	v_cvt_f32_f64_e32 v9, v[13:14]
	ds_read2_b64 v[13:16], v144 offset0:20 offset1:80
	buffer_load_dword v23, off, s[20:23], 0 offset:84 ; 4-byte Folded Reload
	buffer_load_dword v24, off, s[20:23], 0 offset:88 ; 4-byte Folded Reload
	v_cvt_f32_f64_e32 v8, v[33:34]
	s_mul_i32 s6, s8, 0xfffff8a4
	s_lshl_b64 s[6:7], s[6:7], 3
	v_mov_b32_e32 v38, s7
	s_waitcnt vmcnt(0) lgkmcnt(0)
	v_mul_f32_e32 v19, v24, v14
	v_fmac_f32_e32 v19, v23, v13
	v_mul_f32_e32 v13, v24, v13
	v_fma_f32 v13, v23, v14, -v13
	v_add_co_u32_e32 v23, vcc, s6, v35
	v_addc_co_u32_e32 v24, vcc, v36, v38, vcc
	global_store_dwordx2 v[23:24], v[8:9], off
	buffer_load_dword v27, off, s[20:23], 0 offset:76 ; 4-byte Folded Reload
	buffer_load_dword v28, off, s[20:23], 0 offset:80 ; 4-byte Folded Reload
	v_cvt_f64_f32_e32 v[19:20], v19
	v_cvt_f64_f32_e32 v[13:14], v13
	v_add_co_u32_e32 v23, vcc, s2, v23
	v_mul_f64 v[8:9], v[19:20], s[4:5]
	v_mul_f64 v[13:14], v[13:14], s[4:5]
	v_addc_co_u32_e32 v24, vcc, v24, v10, vcc
	v_cvt_f32_f64_e32 v8, v[8:9]
	v_cvt_f32_f64_e32 v9, v[13:14]
	global_store_dwordx2 v[23:24], v[8:9], off
	s_waitcnt vmcnt(1)
	v_mul_f32_e32 v19, v28, v18
	v_fmac_f32_e32 v19, v27, v17
	v_mul_f32_e32 v17, v28, v17
	v_fma_f32 v17, v27, v18, -v17
	v_cvt_f64_f32_e32 v[17:18], v17
	v_cvt_f64_f32_e32 v[19:20], v19
	v_mul_f64 v[27:28], v[17:18], s[4:5]
	v_mul_f64 v[13:14], v[19:20], s[4:5]
	ds_read2_b64 v[17:20], v101 offset0:68 offset1:128
	v_cvt_f32_f64_e32 v9, v[27:28]
	buffer_load_dword v27, off, s[20:23], 0 offset:68 ; 4-byte Folded Reload
	buffer_load_dword v28, off, s[20:23], 0 offset:72 ; 4-byte Folded Reload
	v_cvt_f32_f64_e32 v8, v[13:14]
	s_waitcnt vmcnt(0) lgkmcnt(0)
	v_mul_f32_e32 v13, v28, v18
	v_fmac_f32_e32 v13, v27, v17
	v_mul_f32_e32 v17, v28, v17
	v_fma_f32 v17, v27, v18, -v17
	v_add_co_u32_e32 v27, vcc, s2, v23
	v_addc_co_u32_e32 v28, vcc, v24, v10, vcc
	global_store_dwordx2 v[27:28], v[8:9], off
	buffer_load_dword v23, off, s[20:23], 0 offset:244 ; 4-byte Folded Reload
	buffer_load_dword v24, off, s[20:23], 0 offset:248 ; 4-byte Folded Reload
	v_cvt_f64_f32_e32 v[13:14], v13
	v_cvt_f64_f32_e32 v[17:18], v17
	v_add_co_u32_e32 v27, vcc, s2, v27
	v_mul_f64 v[8:9], v[13:14], s[4:5]
	v_mul_f64 v[13:14], v[17:18], s[4:5]
	v_addc_co_u32_e32 v28, vcc, v28, v10, vcc
	v_cvt_f32_f64_e32 v8, v[8:9]
	v_cvt_f32_f64_e32 v9, v[13:14]
	global_store_dwordx2 v[27:28], v[8:9], off
	s_waitcnt vmcnt(1)
	v_mul_f32_e32 v17, v24, v22
	v_fmac_f32_e32 v17, v23, v21
	v_mul_f32_e32 v21, v24, v21
	v_fma_f32 v21, v23, v22, -v21
	v_cvt_f64_f32_e32 v[17:18], v17
	v_cvt_f64_f32_e32 v[21:22], v21
	v_mul_f64 v[13:14], v[17:18], s[4:5]
	v_mul_f64 v[17:18], v[21:22], s[4:5]
	ds_read2_b64 v[21:24], v100 offset0:116 offset1:176
	buffer_load_dword v33, off, s[20:23], 0 offset:156 ; 4-byte Folded Reload
	buffer_load_dword v34, off, s[20:23], 0 offset:160 ; 4-byte Folded Reload
	v_cvt_f32_f64_e32 v8, v[13:14]
	v_cvt_f32_f64_e32 v9, v[17:18]
	s_waitcnt vmcnt(0) lgkmcnt(0)
	v_mul_f32_e32 v13, v34, v22
	v_fmac_f32_e32 v13, v33, v21
	v_mul_f32_e32 v17, v34, v21
	v_add_co_u32_e32 v21, vcc, s2, v27
	v_fma_f32 v17, v33, v22, -v17
	v_addc_co_u32_e32 v22, vcc, v28, v10, vcc
	global_store_dwordx2 v[21:22], v[8:9], off
	buffer_load_dword v27, off, s[20:23], 0 offset:220 ; 4-byte Folded Reload
	buffer_load_dword v28, off, s[20:23], 0 offset:224 ; 4-byte Folded Reload
	v_cvt_f64_f32_e32 v[13:14], v13
	v_cvt_f64_f32_e32 v[17:18], v17
	v_add_co_u32_e32 v21, vcc, s2, v21
	v_mul_f64 v[8:9], v[13:14], s[4:5]
	v_mul_f64 v[13:14], v[17:18], s[4:5]
	v_addc_co_u32_e32 v22, vcc, v22, v10, vcc
	v_cvt_f32_f64_e32 v8, v[8:9]
	v_cvt_f32_f64_e32 v9, v[13:14]
	global_store_dwordx2 v[21:22], v[8:9], off
	v_add_co_u32_e32 v21, vcc, s2, v21
	v_addc_co_u32_e32 v22, vcc, v22, v10, vcc
	s_waitcnt vmcnt(1)
	v_mul_f32_e32 v17, v28, v26
	v_fmac_f32_e32 v17, v27, v25
	v_mul_f32_e32 v25, v28, v25
	v_fma_f32 v25, v27, v26, -v25
	v_cvt_f64_f32_e32 v[17:18], v17
	v_cvt_f64_f32_e32 v[25:26], v25
	v_mul_f64 v[13:14], v[17:18], s[4:5]
	v_mul_f64 v[17:18], v[25:26], s[4:5]
	ds_read2_b64 v[25:28], v98 offset0:36 offset1:96
	buffer_load_dword v33, off, s[20:23], 0 offset:212 ; 4-byte Folded Reload
	buffer_load_dword v34, off, s[20:23], 0 offset:216 ; 4-byte Folded Reload
	v_cvt_f32_f64_e32 v8, v[13:14]
	v_cvt_f32_f64_e32 v9, v[17:18]
	global_store_dwordx2 v[21:22], v[8:9], off
	v_add_co_u32_e32 v21, vcc, s2, v21
	v_addc_co_u32_e32 v22, vcc, v22, v10, vcc
	s_waitcnt vmcnt(1) lgkmcnt(0)
	v_mul_f32_e32 v13, v34, v26
	v_mul_f32_e32 v17, v34, v25
	v_fmac_f32_e32 v13, v33, v25
	v_fma_f32 v17, v33, v26, -v17
	buffer_load_dword v33, off, s[20:23], 0 offset:188 ; 4-byte Folded Reload
	buffer_load_dword v34, off, s[20:23], 0 offset:192 ; 4-byte Folded Reload
	v_cvt_f64_f32_e32 v[13:14], v13
	v_cvt_f64_f32_e32 v[17:18], v17
	v_mul_f64 v[8:9], v[13:14], s[4:5]
	v_mul_f64 v[13:14], v[17:18], s[4:5]
	v_cvt_f32_f64_e32 v8, v[8:9]
	v_cvt_f32_f64_e32 v9, v[13:14]
	global_store_dwordx2 v[21:22], v[8:9], off
	v_add_co_u32_e32 v21, vcc, s2, v21
	v_addc_co_u32_e32 v22, vcc, v22, v10, vcc
	s_waitcnt vmcnt(1)
	v_mul_f32_e32 v17, v34, v30
	v_mul_f32_e32 v25, v34, v29
	v_fmac_f32_e32 v17, v33, v29
	v_fma_f32 v25, v33, v30, -v25
	v_cvt_f64_f32_e32 v[17:18], v17
	v_cvt_f64_f32_e32 v[25:26], v25
	ds_read2_b64 v[33:36], v99 offset0:84 offset1:144
	v_mul_f64 v[13:14], v[17:18], s[4:5]
	v_mul_f64 v[17:18], v[25:26], s[4:5]
	buffer_load_dword v25, off, s[20:23], 0 offset:172 ; 4-byte Folded Reload
	buffer_load_dword v26, off, s[20:23], 0 offset:176 ; 4-byte Folded Reload
	;; [unrolled: 1-line block ×4, first 2 shown]
	v_cvt_f32_f64_e32 v8, v[13:14]
	v_cvt_f32_f64_e32 v9, v[17:18]
	global_store_dwordx2 v[21:22], v[8:9], off
	s_waitcnt vmcnt(3) lgkmcnt(0)
	v_mul_f32_e32 v13, v26, v34
	v_mul_f32_e32 v17, v26, v33
	v_fmac_f32_e32 v13, v25, v33
	v_fma_f32 v17, v25, v34, -v17
	v_cvt_f64_f32_e32 v[13:14], v13
	v_cvt_f64_f32_e32 v[17:18], v17
	s_waitcnt vmcnt(1)
	v_mul_f32_e32 v25, v30, v1
	v_fmac_f32_e32 v25, v29, v0
	v_mul_f64 v[13:14], v[13:14], s[4:5]
	v_mul_f64 v[17:18], v[17:18], s[4:5]
	v_mul_f32_e32 v0, v30, v0
	v_fma_f32 v0, v29, v1, -v0
	v_cvt_f64_f32_e32 v[25:26], v25
	v_cvt_f64_f32_e32 v[0:1], v0
	v_cvt_f32_f64_e32 v8, v[13:14]
	v_cvt_f32_f64_e32 v9, v[17:18]
	v_add_co_u32_e32 v17, vcc, s2, v21
	v_addc_co_u32_e32 v18, vcc, v22, v10, vcc
	global_store_dwordx2 v[17:18], v[8:9], off
	buffer_load_dword v21, off, s[20:23], 0 offset:44 ; 4-byte Folded Reload
	buffer_load_dword v22, off, s[20:23], 0 offset:48 ; 4-byte Folded Reload
	v_mul_f64 v[13:14], v[25:26], s[4:5]
	v_mul_f64 v[0:1], v[0:1], s[4:5]
	v_cvt_f32_f64_e32 v8, v[13:14]
	v_cvt_f32_f64_e32 v9, v[0:1]
	s_waitcnt vmcnt(0)
	v_mul_f32_e32 v0, v22, v16
	v_mul_f32_e32 v13, v22, v15
	v_fmac_f32_e32 v0, v21, v15
	v_fma_f32 v13, v21, v16, -v13
	v_cvt_f64_f32_e32 v[0:1], v0
	v_cvt_f64_f32_e32 v[13:14], v13
	buffer_load_dword v21, off, s[20:23], 0 offset:36 ; 4-byte Folded Reload
	buffer_load_dword v22, off, s[20:23], 0 offset:40 ; 4-byte Folded Reload
	v_add_co_u32_e32 v15, vcc, s6, v17
	v_mul_f64 v[0:1], v[0:1], s[4:5]
	v_mul_f64 v[13:14], v[13:14], s[4:5]
	v_addc_co_u32_e32 v16, vcc, v18, v38, vcc
	global_store_dwordx2 v[15:16], v[8:9], off
	v_cvt_f32_f64_e32 v0, v[0:1]
	v_cvt_f32_f64_e32 v1, v[13:14]
	v_add_co_u32_e32 v13, vcc, s2, v15
	v_addc_co_u32_e32 v14, vcc, v16, v10, vcc
	global_store_dwordx2 v[13:14], v[0:1], off
	buffer_load_dword v15, off, s[20:23], 0 offset:132 ; 4-byte Folded Reload
	buffer_load_dword v16, off, s[20:23], 0 offset:136 ; 4-byte Folded Reload
	s_waitcnt vmcnt(4)
	v_mul_f32_e32 v17, v22, v3
	v_fmac_f32_e32 v17, v21, v2
	v_mul_f32_e32 v2, v22, v2
	v_fma_f32 v2, v21, v3, -v2
	v_cvt_f64_f32_e32 v[17:18], v17
	v_cvt_f64_f32_e32 v[2:3], v2
	v_mul_f64 v[8:9], v[17:18], s[4:5]
	v_mul_f64 v[2:3], v[2:3], s[4:5]
	v_cvt_f32_f64_e32 v0, v[8:9]
	v_cvt_f32_f64_e32 v1, v[2:3]
	s_waitcnt vmcnt(0)
	v_mul_f32_e32 v2, v16, v20
	v_add_co_u32_e32 v8, vcc, s2, v13
	v_mul_f32_e32 v13, v16, v19
	v_fmac_f32_e32 v2, v15, v19
	v_fma_f32 v13, v15, v20, -v13
	buffer_load_dword v19, off, s[20:23], 0 offset:92 ; 4-byte Folded Reload
	buffer_load_dword v20, off, s[20:23], 0 offset:116 ; 4-byte Folded Reload
	buffer_load_dword v21, off, s[20:23], 0 offset:120 ; 4-byte Folded Reload
	v_cvt_f64_f32_e32 v[2:3], v2
	v_addc_co_u32_e32 v9, vcc, v14, v10, vcc
	v_cvt_f64_f32_e32 v[13:14], v13
	v_mul_f64 v[2:3], v[2:3], s[4:5]
	global_store_dwordx2 v[8:9], v[0:1], off
	v_mul_f64 v[13:14], v[13:14], s[4:5]
	v_cvt_f32_f64_e32 v0, v[2:3]
	v_cvt_f32_f64_e32 v1, v[13:14]
	s_waitcnt vmcnt(3)
	v_mad_u64_u32 v[15:16], s[14:15], s8, v19, 0
	s_waitcnt vmcnt(1)
	v_mul_f32_e32 v17, v21, v5
	v_fmac_f32_e32 v17, v20, v4
	v_cvt_f64_f32_e32 v[17:18], v17
	v_mul_f32_e32 v4, v21, v4
	v_fma_f32 v4, v20, v5, -v4
	v_cvt_f64_f32_e32 v[4:5], v4
	v_mul_f64 v[17:18], v[17:18], s[4:5]
	v_mul_f64 v[4:5], v[4:5], s[4:5]
	v_mad_u64_u32 v[19:20], s[14:15], s9, v19, v[16:17]
	v_cvt_f32_f64_e32 v13, v[17:18]
	v_mad_u64_u32 v[8:9], s[8:9], s8, v37, v[8:9]
	v_mov_b32_e32 v16, v19
	v_lshlrev_b64 v[2:3], 3, v[15:16]
	buffer_load_dword v16, off, s[20:23], 0 offset:12 ; 4-byte Folded Reload
	buffer_load_dword v17, off, s[20:23], 0 offset:16 ; 4-byte Folded Reload
	v_cvt_f32_f64_e32 v14, v[4:5]
	v_add_co_u32_e32 v2, vcc, v11, v2
	v_addc_co_u32_e32 v3, vcc, v12, v3, vcc
	v_add_u32_e32 v9, s13, v9
	global_store_dwordx2 v[2:3], v[0:1], off
	global_store_dwordx2 v[8:9], v[13:14], off
	buffer_load_dword v11, off, s[20:23], 0 offset:20 ; 4-byte Folded Reload
	buffer_load_dword v12, off, s[20:23], 0 offset:24 ; 4-byte Folded Reload
	s_waitcnt vmcnt(4)
	v_mul_f32_e32 v4, v17, v24
	v_fmac_f32_e32 v4, v16, v23
	v_cvt_f64_f32_e32 v[4:5], v4
	v_mul_f32_e32 v15, v17, v23
	v_fma_f32 v15, v16, v24, -v15
	v_cvt_f64_f32_e32 v[15:16], v15
	v_mul_f64 v[4:5], v[4:5], s[4:5]
	s_waitcnt vmcnt(0)
	v_mul_f32_e32 v2, v12, v7
	v_fmac_f32_e32 v2, v11, v6
	v_mul_f64 v[15:16], v[15:16], s[4:5]
	v_cvt_f64_f32_e32 v[2:3], v2
	v_cvt_f32_f64_e32 v0, v[4:5]
	v_mul_f32_e32 v4, v12, v6
	buffer_load_dword v12, off, s[20:23], 0 offset:28 ; 4-byte Folded Reload
	buffer_load_dword v13, off, s[20:23], 0 offset:32 ; 4-byte Folded Reload
	v_fma_f32 v4, v11, v7, -v4
	v_cvt_f64_f32_e32 v[4:5], v4
	v_mul_f64 v[2:3], v[2:3], s[4:5]
	v_add_co_u32_e32 v6, vcc, s2, v8
	v_mul_f64 v[4:5], v[4:5], s[4:5]
	v_cvt_f32_f64_e32 v1, v[15:16]
	v_addc_co_u32_e32 v7, vcc, v9, v10, vcc
	global_store_dwordx2 v[6:7], v[0:1], off
	v_cvt_f32_f64_e32 v0, v[2:3]
	v_cvt_f32_f64_e32 v1, v[4:5]
	v_add_co_u32_e32 v4, vcc, s2, v6
	v_addc_co_u32_e32 v5, vcc, v7, v10, vcc
	global_store_dwordx2 v[4:5], v[0:1], off
	v_add_co_u32_e32 v4, vcc, s2, v4
	v_addc_co_u32_e32 v5, vcc, v5, v10, vcc
	s_waitcnt vmcnt(2)
	v_mul_f32_e32 v8, v13, v28
	v_mul_f32_e32 v11, v13, v27
	v_fmac_f32_e32 v8, v12, v27
	v_fma_f32 v11, v12, v28, -v11
	v_cvt_f64_f32_e32 v[8:9], v8
	v_cvt_f64_f32_e32 v[11:12], v11
	v_mul_f64 v[2:3], v[8:9], s[4:5]
	v_mul_f64 v[8:9], v[11:12], s[4:5]
	v_cvt_f32_f64_e32 v0, v[2:3]
	v_cvt_f32_f64_e32 v1, v[8:9]
	buffer_load_dword v7, off, s[20:23], 0 offset:4 ; 4-byte Folded Reload
	buffer_load_dword v8, off, s[20:23], 0 offset:8 ; 4-byte Folded Reload
	;; [unrolled: 1-line block ×4, first 2 shown]
	s_waitcnt vmcnt(2)
	v_mul_f32_e32 v2, v8, v32
	v_fmac_f32_e32 v2, v7, v31
	v_cvt_f64_f32_e32 v[2:3], v2
	v_mul_f32_e32 v6, v8, v31
	v_fma_f32 v6, v7, v32, -v6
	v_cvt_f64_f32_e32 v[6:7], v6
	v_mul_f64 v[2:3], v[2:3], s[4:5]
	s_waitcnt vmcnt(0)
	v_mul_f32_e32 v8, v13, v36
	v_mul_f32_e32 v11, v13, v35
	v_fmac_f32_e32 v8, v12, v35
	v_fma_f32 v11, v12, v36, -v11
	v_cvt_f64_f32_e32 v[8:9], v8
	v_cvt_f64_f32_e32 v[11:12], v11
	v_mul_f64 v[6:7], v[6:7], s[4:5]
	global_store_dwordx2 v[4:5], v[0:1], off
	v_cvt_f32_f64_e32 v0, v[2:3]
	v_mul_f64 v[2:3], v[8:9], s[4:5]
	v_mul_f64 v[8:9], v[11:12], s[4:5]
	v_add_co_u32_e32 v4, vcc, s2, v4
	v_addc_co_u32_e32 v5, vcc, v5, v10, vcc
	v_cvt_f32_f64_e32 v1, v[6:7]
	v_cvt_f32_f64_e32 v2, v[2:3]
	;; [unrolled: 1-line block ×3, first 2 shown]
	global_store_dwordx2 v[4:5], v[0:1], off
	v_add_co_u32_e32 v0, vcc, s2, v4
	v_addc_co_u32_e32 v1, vcc, v5, v10, vcc
	global_store_dwordx2 v[0:1], v[2:3], off
	s_and_b64 exec, exec, s[0:1]
	s_cbranch_execz .LBB0_15
; %bb.14:
	global_load_dwordx2 v[6:7], v[237:238], off offset:1440
	v_add_u32_e32 v2, 0x500, v236
	ds_read2_b64 v[2:5], v2 offset0:20 offset1:236
	v_add_co_u32_e32 v0, vcc, s6, v0
	v_mov_b32_e32 v10, s3
	s_movk_i32 s0, 0x4000
	s_waitcnt vmcnt(0) lgkmcnt(0)
	v_mul_f32_e32 v8, v3, v7
	v_mul_f32_e32 v7, v2, v7
	v_fmac_f32_e32 v8, v2, v6
	v_fma_f32 v6, v6, v3, -v7
	v_cvt_f64_f32_e32 v[2:3], v8
	v_cvt_f64_f32_e32 v[6:7], v6
	v_mov_b32_e32 v8, s7
	v_addc_co_u32_e32 v1, vcc, v1, v8, vcc
	v_mul_f64 v[2:3], v[2:3], s[4:5]
	v_mul_f64 v[6:7], v[6:7], s[4:5]
	v_cvt_f32_f64_e32 v2, v[2:3]
	v_cvt_f32_f64_e32 v3, v[6:7]
	global_store_dwordx2 v[0:1], v[2:3], off
	global_load_dwordx2 v[2:3], v[237:238], off offset:3168
	s_waitcnt vmcnt(0)
	v_mul_f32_e32 v6, v5, v3
	v_mul_f32_e32 v3, v4, v3
	v_fmac_f32_e32 v6, v4, v2
	v_fma_f32 v4, v2, v5, -v3
	v_cvt_f64_f32_e32 v[2:3], v6
	v_cvt_f64_f32_e32 v[4:5], v4
	v_add_co_u32_e32 v6, vcc, s12, v237
	v_mul_f64 v[2:3], v[2:3], s[4:5]
	v_mul_f64 v[4:5], v[4:5], s[4:5]
	v_addc_co_u32_e32 v7, vcc, 0, v238, vcc
	v_cvt_f32_f64_e32 v2, v[2:3]
	v_cvt_f32_f64_e32 v3, v[4:5]
	v_add_co_u32_e32 v4, vcc, s2, v0
	v_addc_co_u32_e32 v5, vcc, v1, v10, vcc
	global_store_dwordx2 v[4:5], v[2:3], off
	global_load_dwordx2 v[8:9], v[6:7], off offset:800
	v_add_u32_e32 v0, 0x1200, v236
	ds_read2_b64 v[0:3], v0 offset0:36 offset1:252
	v_add_co_u32_e32 v4, vcc, s2, v4
	v_addc_co_u32_e32 v5, vcc, v5, v10, vcc
	s_waitcnt vmcnt(0) lgkmcnt(0)
	v_mul_f32_e32 v11, v1, v9
	v_mul_f32_e32 v9, v0, v9
	v_fmac_f32_e32 v11, v0, v8
	v_fma_f32 v8, v8, v1, -v9
	v_cvt_f64_f32_e32 v[0:1], v11
	v_cvt_f64_f32_e32 v[8:9], v8
	v_mul_f64 v[0:1], v[0:1], s[4:5]
	v_mul_f64 v[8:9], v[8:9], s[4:5]
	v_cvt_f32_f64_e32 v0, v[0:1]
	v_cvt_f32_f64_e32 v1, v[8:9]
	global_store_dwordx2 v[4:5], v[0:1], off
	global_load_dwordx2 v[0:1], v[6:7], off offset:2528
	s_waitcnt vmcnt(0)
	v_mul_f32_e32 v6, v3, v1
	v_mul_f32_e32 v1, v2, v1
	v_fmac_f32_e32 v6, v2, v0
	v_fma_f32 v2, v0, v3, -v1
	v_cvt_f64_f32_e32 v[0:1], v6
	v_cvt_f64_f32_e32 v[2:3], v2
	v_add_co_u32_e32 v6, vcc, s11, v237
	v_mul_f64 v[0:1], v[0:1], s[4:5]
	v_mul_f64 v[2:3], v[2:3], s[4:5]
	v_addc_co_u32_e32 v7, vcc, 0, v238, vcc
	v_add_co_u32_e32 v4, vcc, s2, v4
	v_addc_co_u32_e32 v5, vcc, v5, v10, vcc
	v_cvt_f32_f64_e32 v0, v[0:1]
	v_cvt_f32_f64_e32 v1, v[2:3]
	global_store_dwordx2 v[4:5], v[0:1], off
	global_load_dwordx2 v[8:9], v[6:7], off offset:160
	ds_read2_b64 v[0:3], v100 offset0:20 offset1:236
	v_add_co_u32_e32 v4, vcc, s2, v4
	v_addc_co_u32_e32 v5, vcc, v5, v10, vcc
	s_waitcnt vmcnt(0) lgkmcnt(0)
	v_mul_f32_e32 v11, v1, v9
	v_mul_f32_e32 v9, v0, v9
	v_fmac_f32_e32 v11, v0, v8
	v_fma_f32 v8, v8, v1, -v9
	v_cvt_f64_f32_e32 v[0:1], v11
	v_cvt_f64_f32_e32 v[8:9], v8
	v_mul_f64 v[0:1], v[0:1], s[4:5]
	v_mul_f64 v[8:9], v[8:9], s[4:5]
	v_cvt_f32_f64_e32 v0, v[0:1]
	v_cvt_f32_f64_e32 v1, v[8:9]
	global_store_dwordx2 v[4:5], v[0:1], off
	global_load_dwordx2 v[0:1], v[6:7], off offset:1888
	v_add_co_u32_e32 v4, vcc, s2, v4
	v_addc_co_u32_e32 v5, vcc, v5, v10, vcc
	s_waitcnt vmcnt(0)
	v_mul_f32_e32 v8, v3, v1
	v_mul_f32_e32 v1, v2, v1
	v_fmac_f32_e32 v8, v2, v0
	v_fma_f32 v2, v0, v3, -v1
	v_cvt_f64_f32_e32 v[0:1], v8
	v_cvt_f64_f32_e32 v[2:3], v2
	v_mul_f64 v[0:1], v[0:1], s[4:5]
	v_mul_f64 v[2:3], v[2:3], s[4:5]
	v_cvt_f32_f64_e32 v0, v[0:1]
	v_cvt_f32_f64_e32 v1, v[2:3]
	global_store_dwordx2 v[4:5], v[0:1], off
	global_load_dwordx2 v[6:7], v[6:7], off offset:3616
	v_add_u32_e32 v0, 0x2e00, v236
	ds_read2_b64 v[0:3], v0 offset0:4 offset1:220
	s_waitcnt vmcnt(0) lgkmcnt(0)
	v_mul_f32_e32 v8, v1, v7
	v_mul_f32_e32 v7, v0, v7
	v_fmac_f32_e32 v8, v0, v6
	v_fma_f32 v6, v6, v1, -v7
	v_cvt_f64_f32_e32 v[0:1], v8
	v_cvt_f64_f32_e32 v[6:7], v6
	v_add_co_u32_e32 v8, vcc, s10, v237
	v_mul_f64 v[0:1], v[0:1], s[4:5]
	v_mul_f64 v[6:7], v[6:7], s[4:5]
	v_addc_co_u32_e32 v9, vcc, 0, v238, vcc
	v_add_co_u32_e32 v4, vcc, s2, v4
	v_addc_co_u32_e32 v5, vcc, v5, v10, vcc
	v_cvt_f32_f64_e32 v0, v[0:1]
	v_cvt_f32_f64_e32 v1, v[6:7]
	global_store_dwordx2 v[4:5], v[0:1], off
	global_load_dwordx2 v[0:1], v[8:9], off offset:1248
	v_add_co_u32_e32 v4, vcc, s2, v4
	v_addc_co_u32_e32 v5, vcc, v5, v10, vcc
	s_waitcnt vmcnt(0)
	v_mul_f32_e32 v6, v3, v1
	v_mul_f32_e32 v1, v2, v1
	v_fmac_f32_e32 v6, v2, v0
	v_fma_f32 v2, v0, v3, -v1
	v_cvt_f64_f32_e32 v[0:1], v6
	v_cvt_f64_f32_e32 v[2:3], v2
	v_mul_f64 v[0:1], v[0:1], s[4:5]
	v_mul_f64 v[2:3], v[2:3], s[4:5]
	v_cvt_f32_f64_e32 v0, v[0:1]
	v_cvt_f32_f64_e32 v1, v[2:3]
	global_store_dwordx2 v[4:5], v[0:1], off
	global_load_dwordx2 v[6:7], v[8:9], off offset:2976
	v_add_u32_e32 v0, 0x3b00, v236
	ds_read2_b64 v[0:3], v0 offset0:20 offset1:236
	s_waitcnt vmcnt(0) lgkmcnt(0)
	v_mul_f32_e32 v8, v1, v7
	v_mul_f32_e32 v7, v0, v7
	v_fmac_f32_e32 v8, v0, v6
	v_fma_f32 v6, v6, v1, -v7
	v_cvt_f64_f32_e32 v[0:1], v8
	v_cvt_f64_f32_e32 v[6:7], v6
	v_add_co_u32_e32 v8, vcc, s0, v237
	v_mul_f64 v[0:1], v[0:1], s[4:5]
	v_mul_f64 v[6:7], v[6:7], s[4:5]
	v_addc_co_u32_e32 v9, vcc, 0, v238, vcc
	v_add_co_u32_e32 v4, vcc, s2, v4
	v_addc_co_u32_e32 v5, vcc, v5, v10, vcc
	v_cvt_f32_f64_e32 v0, v[0:1]
	v_cvt_f32_f64_e32 v1, v[6:7]
	global_store_dwordx2 v[4:5], v[0:1], off
	global_load_dwordx2 v[0:1], v[8:9], off offset:608
	s_waitcnt vmcnt(0)
	v_mul_f32_e32 v6, v3, v1
	v_mul_f32_e32 v1, v2, v1
	v_fmac_f32_e32 v6, v2, v0
	v_fma_f32 v2, v0, v3, -v1
	v_cvt_f64_f32_e32 v[0:1], v6
	v_cvt_f64_f32_e32 v[2:3], v2
	v_mul_f64 v[0:1], v[0:1], s[4:5]
	v_mul_f64 v[2:3], v[2:3], s[4:5]
	v_cvt_f32_f64_e32 v0, v[0:1]
	v_cvt_f32_f64_e32 v1, v[2:3]
	v_add_co_u32_e32 v2, vcc, s2, v4
	v_addc_co_u32_e32 v3, vcc, v5, v10, vcc
	global_store_dwordx2 v[2:3], v[0:1], off
.LBB0_15:
	s_endpgm
	.section	.rodata,"a",@progbits
	.p2align	6, 0x0
	.amdhsa_kernel bluestein_single_back_len2160_dim1_sp_op_CI_CI
		.amdhsa_group_segment_fixed_size 17280
		.amdhsa_private_segment_fixed_size 384
		.amdhsa_kernarg_size 104
		.amdhsa_user_sgpr_count 6
		.amdhsa_user_sgpr_private_segment_buffer 1
		.amdhsa_user_sgpr_dispatch_ptr 0
		.amdhsa_user_sgpr_queue_ptr 0
		.amdhsa_user_sgpr_kernarg_segment_ptr 1
		.amdhsa_user_sgpr_dispatch_id 0
		.amdhsa_user_sgpr_flat_scratch_init 0
		.amdhsa_user_sgpr_private_segment_size 0
		.amdhsa_uses_dynamic_stack 0
		.amdhsa_system_sgpr_private_segment_wavefront_offset 1
		.amdhsa_system_sgpr_workgroup_id_x 1
		.amdhsa_system_sgpr_workgroup_id_y 0
		.amdhsa_system_sgpr_workgroup_id_z 0
		.amdhsa_system_sgpr_workgroup_info 0
		.amdhsa_system_vgpr_workitem_id 0
		.amdhsa_next_free_vgpr 256
		.amdhsa_next_free_sgpr 24
		.amdhsa_reserve_vcc 1
		.amdhsa_reserve_flat_scratch 0
		.amdhsa_float_round_mode_32 0
		.amdhsa_float_round_mode_16_64 0
		.amdhsa_float_denorm_mode_32 3
		.amdhsa_float_denorm_mode_16_64 3
		.amdhsa_dx10_clamp 1
		.amdhsa_ieee_mode 1
		.amdhsa_fp16_overflow 0
		.amdhsa_exception_fp_ieee_invalid_op 0
		.amdhsa_exception_fp_denorm_src 0
		.amdhsa_exception_fp_ieee_div_zero 0
		.amdhsa_exception_fp_ieee_overflow 0
		.amdhsa_exception_fp_ieee_underflow 0
		.amdhsa_exception_fp_ieee_inexact 0
		.amdhsa_exception_int_div_zero 0
	.end_amdhsa_kernel
	.text
.Lfunc_end0:
	.size	bluestein_single_back_len2160_dim1_sp_op_CI_CI, .Lfunc_end0-bluestein_single_back_len2160_dim1_sp_op_CI_CI
                                        ; -- End function
	.section	.AMDGPU.csdata,"",@progbits
; Kernel info:
; codeLenInByte = 34572
; NumSgprs: 28
; NumVgprs: 256
; ScratchSize: 384
; MemoryBound: 0
; FloatMode: 240
; IeeeMode: 1
; LDSByteSize: 17280 bytes/workgroup (compile time only)
; SGPRBlocks: 3
; VGPRBlocks: 63
; NumSGPRsForWavesPerEU: 28
; NumVGPRsForWavesPerEU: 256
; Occupancy: 1
; WaveLimiterHint : 1
; COMPUTE_PGM_RSRC2:SCRATCH_EN: 1
; COMPUTE_PGM_RSRC2:USER_SGPR: 6
; COMPUTE_PGM_RSRC2:TRAP_HANDLER: 0
; COMPUTE_PGM_RSRC2:TGID_X_EN: 1
; COMPUTE_PGM_RSRC2:TGID_Y_EN: 0
; COMPUTE_PGM_RSRC2:TGID_Z_EN: 0
; COMPUTE_PGM_RSRC2:TIDIG_COMP_CNT: 0
	.type	__hip_cuid_be2aab791beb7f03,@object ; @__hip_cuid_be2aab791beb7f03
	.section	.bss,"aw",@nobits
	.globl	__hip_cuid_be2aab791beb7f03
__hip_cuid_be2aab791beb7f03:
	.byte	0                               ; 0x0
	.size	__hip_cuid_be2aab791beb7f03, 1

	.ident	"AMD clang version 19.0.0git (https://github.com/RadeonOpenCompute/llvm-project roc-6.4.0 25133 c7fe45cf4b819c5991fe208aaa96edf142730f1d)"
	.section	".note.GNU-stack","",@progbits
	.addrsig
	.addrsig_sym __hip_cuid_be2aab791beb7f03
	.amdgpu_metadata
---
amdhsa.kernels:
  - .args:
      - .actual_access:  read_only
        .address_space:  global
        .offset:         0
        .size:           8
        .value_kind:     global_buffer
      - .actual_access:  read_only
        .address_space:  global
        .offset:         8
        .size:           8
        .value_kind:     global_buffer
      - .actual_access:  read_only
        .address_space:  global
        .offset:         16
        .size:           8
        .value_kind:     global_buffer
      - .actual_access:  read_only
        .address_space:  global
        .offset:         24
        .size:           8
        .value_kind:     global_buffer
      - .actual_access:  read_only
        .address_space:  global
        .offset:         32
        .size:           8
        .value_kind:     global_buffer
      - .offset:         40
        .size:           8
        .value_kind:     by_value
      - .address_space:  global
        .offset:         48
        .size:           8
        .value_kind:     global_buffer
      - .address_space:  global
        .offset:         56
        .size:           8
        .value_kind:     global_buffer
      - .address_space:  global
        .offset:         64
        .size:           8
        .value_kind:     global_buffer
      - .address_space:  global
        .offset:         72
        .size:           8
        .value_kind:     global_buffer
      - .offset:         80
        .size:           4
        .value_kind:     by_value
      - .address_space:  global
        .offset:         88
        .size:           8
        .value_kind:     global_buffer
      - .address_space:  global
        .offset:         96
        .size:           8
        .value_kind:     global_buffer
    .group_segment_fixed_size: 17280
    .kernarg_segment_align: 8
    .kernarg_segment_size: 104
    .language:       OpenCL C
    .language_version:
      - 2
      - 0
    .max_flat_workgroup_size: 60
    .name:           bluestein_single_back_len2160_dim1_sp_op_CI_CI
    .private_segment_fixed_size: 384
    .sgpr_count:     28
    .sgpr_spill_count: 0
    .symbol:         bluestein_single_back_len2160_dim1_sp_op_CI_CI.kd
    .uniform_work_group_size: 1
    .uses_dynamic_stack: false
    .vgpr_count:     256
    .vgpr_spill_count: 95
    .wavefront_size: 64
amdhsa.target:   amdgcn-amd-amdhsa--gfx906
amdhsa.version:
  - 1
  - 2
...

	.end_amdgpu_metadata
